;; amdgpu-corpus repo=ROCm/aiter kind=harvested arch=n/a opt=n/a

/root/src/amdgpu-assembly/repos/ROCm__aiter/hsa/gfx942/fmha_v3_bwd/bwd_hd192_fp16_causal_a32_psskddv.co:	file format elf64-amdgpu

Disassembly of section .text:

0000000000003e00 <_ZN5aiter38fmha_bwd_hd192_fp16_causal_a32_psskddvE>:
	s_and_b32 s1, s1, 0xffff                                   // 000000003E00: 8601FF01 0000FFFF
	s_load_dwordx2 s[32:33], s[0:1], 0x0                       // 000000003E08: C0060800 00000000
	s_load_dwordx2 s[36:37], s[0:1], 0x10                      // 000000003E10: C0060900 00000010
	s_load_dwordx2 s[40:41], s[0:1], 0x20                      // 000000003E18: C0060A00 00000020
	s_load_dwordx2 s[8:9], s[0:1], 0x30                        // 000000003E20: C0060200 00000030
	s_load_dwordx2 s[12:13], s[0:1], 0x40                      // 000000003E28: C0060300 00000040
	s_load_dwordx2 s[16:17], s[0:1], 0x50                      // 000000003E30: C0060400 00000050
	s_load_dwordx2 s[20:21], s[0:1], 0x60                      // 000000003E38: C0060500 00000060
	s_load_dwordx2 s[24:25], s[0:1], 0x70                      // 000000003E40: C0060600 00000070
	s_load_dwordx2 s[28:29], s[0:1], 0x80                      // 000000003E48: C0060700 00000080
	s_load_dword s47, s[0:1], 0x90                             // 000000003E50: C0020BC0 00000090
	s_load_dword s48, s[0:1], 0xa0                             // 000000003E58: C0020C00 000000A0
	s_load_dword s49, s[0:1], 0xb0                             // 000000003E60: C0020C40 000000B0
	s_load_dword s80, s[0:1], 0xd0                             // 000000003E68: C0021400 000000D0
	s_load_dword s81, s[0:1], 0xe0                             // 000000003E70: C0021440 000000E0
	s_load_dword s5, s[0:1], 0xf0                              // 000000003E78: C0020140 000000F0
	s_load_dword s44, s[0:1], 0x100                            // 000000003E80: C0020B00 00000100
	s_load_dword s82, s[0:1], 0x110                            // 000000003E88: C0021480 00000110
	s_load_dword s83, s[0:1], 0x120                            // 000000003E90: C00214C0 00000120
	s_load_dword s6, s[0:1], 0x130                             // 000000003E98: C0020180 00000130
	s_load_dword s52, s[0:1], 0x140                            // 000000003EA0: C0020D00 00000140
	s_load_dword s50, s[0:1], 0x150                            // 000000003EA8: C0020C80 00000150
	s_load_dword s96, s[0:1], 0x160                            // 000000003EB0: C0021800 00000160
	s_load_dword s72, s[0:1], 0x180                            // 000000003EB8: C0021200 00000180
	s_load_dword s88, s[0:1], 0x190                            // 000000003EC0: C0021600 00000190
	s_load_dword s89, s[0:1], 0x1a0                            // 000000003EC8: C0021640 000001A0
	s_load_dword s7, s[0:1], 0x1b0                             // 000000003ED0: C00201C0 000001B0
	s_load_dword s90, s[0:1], 0x1c0                            // 000000003ED8: C0021680 000001C0
	s_load_dword s91, s[0:1], 0x1d0                            // 000000003EE0: C00216C0 000001D0
	s_load_dword s51, s[0:1], 0x1e0                            // 000000003EE8: C0020CC0 000001E0
	s_load_dword s92, s[0:1], 0x1f0                            // 000000003EF0: C0021700 000001F0
	s_load_dword s93, s[0:1], 0x200                            // 000000003EF8: C0021740 00000200
	s_load_dword s94, s[0:1], 0x210                            // 000000003F00: C0021780 00000210
	s_load_dword s95, s[0:1], 0x220                            // 000000003F08: C00217C0 00000220
	s_load_dword s53, s[0:1], 0x230                            // 000000003F10: C0020D40 00000230
	v_lshrrev_b32_e32 v1, 10, v0                               // 000000003F18: 2002008A
	v_lshrrev_b32_e32 v2, 10, v1                               // 000000003F1C: 2004028A
	v_and_b32_e32 v2, 0x3ff, v2                                // 000000003F20: 260404FF 000003FF
	v_and_b32_e32 v1, 0x3ff, v1                                // 000000003F28: 260202FF 000003FF
	v_and_b32_e32 v0, 0x3ff, v0                                // 000000003F30: 260000FF 000003FF
	v_lshrrev_b32_e32 v3, 6, v0                                // 000000003F38: 20060086
	v_and_b32_e32 v0, 63, v0                                   // 000000003F3C: 260000BF
	s_mov_b32 s2, s2                                           // 000000003F40: BE820002
	s_mov_b32 s3, s3                                           // 000000003F44: BE830003
	s_mov_b32 s4, s4                                           // 000000003F48: BE840004
	v_readfirstlane_b32 s46, v3                                // 000000003F4C: 7E5C0503
	s_waitcnt lgkmcnt(0)                                       // 000000003F50: BF8CC07F
	s_mov_b32 s11, 0x20000                                     // 000000003F54: BE8B00FF 00020000
	s_mov_b32 s15, 0x20000                                     // 000000003F5C: BE8F00FF 00020000
	s_mov_b32 s19, 0x20000                                     // 000000003F64: BE9300FF 00020000
	s_mov_b32 s23, 0x20000                                     // 000000003F6C: BE9700FF 00020000
	s_mov_b32 s27, 0x20000                                     // 000000003F74: BE9B00FF 00020000
	s_mov_b32 s31, 0x20000                                     // 000000003F7C: BE9F00FF 00020000
	s_mov_b32 s35, 0x20000                                     // 000000003F84: BEA300FF 00020000
	s_mov_b32 s39, 0x20000                                     // 000000003F8C: BEA700FF 00020000
	s_mov_b32 s43, 0x20000                                     // 000000003F94: BEAB00FF 00020000
	s_and_b32 s9, s9, 0xffff                                   // 000000003F9C: 8609FF09 0000FFFF
	s_and_b32 s13, s13, 0xffff                                 // 000000003FA4: 860DFF0D 0000FFFF
	s_and_b32 s17, s17, 0xffff                                 // 000000003FAC: 8611FF11 0000FFFF
	s_and_b32 s21, s21, 0xffff                                 // 000000003FB4: 8615FF15 0000FFFF
	s_and_b32 s25, s25, 0xffff                                 // 000000003FBC: 8619FF19 0000FFFF
	s_and_b32 s29, s29, 0xffff                                 // 000000003FC4: 861DFF1D 0000FFFF
	s_and_b32 s33, s33, 0xffff                                 // 000000003FCC: 8621FF21 0000FFFF
	s_and_b32 s37, s37, 0xffff                                 // 000000003FD4: 8625FF25 0000FFFF
	s_and_b32 s41, s41, 0xffff                                 // 000000003FDC: 8629FF29 0000FFFF
	s_or_b32 s9, s9, 0x40000                                   // 000000003FE4: 8709FF09 00040000
	s_or_b32 s13, s13, 0x40000                                 // 000000003FEC: 870DFF0D 00040000
	s_or_b32 s17, s17, 0x40000                                 // 000000003FF4: 8711FF11 00040000
	s_or_b32 s21, s21, 0x40000                                 // 000000003FFC: 8715FF15 00040000
	s_or_b32 s25, s25, 0x40000                                 // 000000004004: 8719FF19 00040000
	s_or_b32 s29, s29, 0x40000                                 // 00000000400C: 871DFF1D 00040000
	s_or_b32 s33, s33, 0x40000                                 // 000000004014: 8721FF21 00040000
	s_or_b32 s37, s37, 0x40000                                 // 00000000401C: 8725FF25 00040000
	s_or_b32 s41, s41, 0x40000                                 // 000000004024: 8729FF29 00040000
	v_accvgpr_write_b32 a143, 0                                // 00000000402C: D3D9408F 18000080
	v_mov_b32_e32 v209, 0                                      // 000000004034: 7FA20280
	s_mov_b32 s71, s3                                          // 000000004038: BEC70003
	v_cvt_f32_u32_e32 v28, s44                                 // 00000000403C: 7E380C2C
	s_sub_i32 s60, 0, s44                                      // 000000004040: 81BC2C80
	v_rcp_iflag_f32_e32 v28, v28                               // 000000004044: 7E38471C
	s_nop 0                                                    // 000000004048: BF800000
	v_mul_f32_e32 v28, 0x4f7ffffe, v28                         // 00000000404C: 0A3838FF 4F7FFFFE
	v_cvt_u32_f32_e32 v28, v28                                 // 000000004054: 7E380F1C
	v_mul_lo_u32 v29, s60, v28                                 // 000000004058: D285001D 0002383C
	v_mul_hi_u32 v29, v28, v29                                 // 000000004060: D286001D 00023B1C
	v_add_u32_e32 v28, v28, v29                                // 000000004068: 68383B1C
	v_mul_hi_u32 v28, s71, v28                                 // 00000000406C: D286001C 00023847
	v_mul_lo_u32 v29, v28, s44                                 // 000000004074: D285001D 0000591C
	v_sub_u32_e32 v31, s71, v29                                // 00000000407C: 6A3E3A47
	v_add_u32_e32 v30, 1, v28                                  // 000000004080: 683C3881
	v_cmp_le_u32_e32 vcc, s44, v31                             // 000000004084: 7D963E2C
	v_subrev_u32_e32 v29, s44, v31                             // 000000004088: 6C3A3E2C
	s_nop 0                                                    // 00000000408C: BF800000
	v_cndmask_b32_e32 v28, v28, v30, vcc                       // 000000004090: 00383D1C
	v_cndmask_b32_e32 v31, v31, v29, vcc                       // 000000004094: 003E3B1F
	v_add_u32_e32 v29, 1, v28                                  // 000000004098: 683A3881
	v_cmp_le_u32_e32 vcc, s44, v31                             // 00000000409C: 7D963E2C
	s_nop 1                                                    // 0000000040A0: BF800001
	v_cndmask_b32_e32 v31, v28, v29, vcc                       // 0000000040A4: 003E3B1C
	s_nop 3                                                    // 0000000040A8: BF800003
	v_readfirstlane_b32 s45, v31                               // 0000000040AC: 7E5A051F
	s_nop 3                                                    // 0000000040B0: BF800003
	s_mul_i32 s61, s45, s82                                    // 0000000040B4: 923D522D
	s_mov_b32 s54, s61                                         // 0000000040B8: BEB6003D
	s_add_u32 s12, s54, s12                                    // 0000000040BC: 800C0C36
	s_addc_u32 s13, 0, s13                                     // 0000000040C0: 820D0D80
	s_mul_i32 s60, s4, s83                                     // 0000000040C4: 923C5304
	s_mul_hi_u32 s61, s4, s83                                  // 0000000040C8: 963D5304
	s_and_b32 s61, s61, 0xffff                                 // 0000000040CC: 863DFF3D 0000FFFF
	s_add_u32 s12, s12, s60                                    // 0000000040D4: 800C3C0C
	s_addc_u32 s13, s13, s61                                   // 0000000040D8: 820D3D0D
	s_mul_i32 s61, s45, s88                                    // 0000000040DC: 923D582D
	s_mov_b32 s54, s61                                         // 0000000040E0: BEB6003D
	s_add_u32 s16, s54, s16                                    // 0000000040E4: 80101036
	s_addc_u32 s17, 0, s17                                     // 0000000040E8: 82111180
	s_mul_i32 s60, s4, s89                                     // 0000000040EC: 923C5904
	s_mul_hi_u32 s61, s4, s89                                  // 0000000040F0: 963D5904
	s_and_b32 s61, s61, 0xffff                                 // 0000000040F4: 863DFF3D 0000FFFF
	s_add_u32 s16, s16, s60                                    // 0000000040FC: 80103C10
	s_addc_u32 s17, s17, s61                                   // 000000004100: 82113D11
	s_mul_i32 s61, s3, s80                                     // 000000004104: 923D5003
	s_mov_b32 s55, s61                                         // 000000004108: BEB7003D
	s_add_u32 s8, s55, s8                                      // 00000000410C: 80080837
	s_addc_u32 s9, 0, s9                                       // 000000004110: 82090980
	s_mul_i32 s60, s4, s81                                     // 000000004114: 923C5104
	s_mul_hi_u32 s61, s4, s81                                  // 000000004118: 963D5104
	s_and_b32 s61, s61, 0xffff                                 // 00000000411C: 863DFF3D 0000FFFF
	s_add_u32 s8, s8, s60                                      // 000000004124: 80083C08
	s_addc_u32 s9, s9, s61                                     // 000000004128: 82093D09
	s_mul_i32 s61, s3, s90                                     // 00000000412C: 923D5A03
	s_mov_b32 s56, s61                                         // 000000004130: BEB8003D
	s_add_u32 s20, s56, s20                                    // 000000004134: 80141438
	s_addc_u32 s21, 0, s21                                     // 000000004138: 82151580
	s_mul_i32 s60, s4, s91                                     // 00000000413C: 923C5B04
	s_mul_hi_u32 s61, s4, s91                                  // 000000004140: 963D5B04
	s_and_b32 s61, s61, 0xffff                                 // 000000004144: 863DFF3D 0000FFFF
	s_add_u32 s20, s20, s60                                    // 00000000414C: 80143C14
	s_addc_u32 s21, s21, s61                                   // 000000004150: 82153D15
	s_mul_i32 s62, s4, s72                                     // 000000004154: 923E4804
	s_mul_i32 s62, s62, s49                                    // 000000004158: 923E313E
	s_lshl_b32 s62, s62, 2                                     // 00000000415C: 8E3E823E
	s_mul_i32 s61, s3, s49                                     // 000000004160: 923D3103
	s_mul_i32 s61, 4, s61                                      // 000000004164: 923D3D84
	s_add_u32 s65, s61, s62                                    // 000000004168: 80413E3D
	s_mov_b32 s26, s49                                         // 00000000416C: BE9A0031
	s_mov_b32 s30, s49                                         // 000000004170: BE9E0031
	s_add_u32 s24, s65, s24                                    // 000000004174: 80181841
	s_addc_u32 s25, 0, s25                                     // 000000004178: 82191980
	s_add_u32 s28, s65, s28                                    // 00000000417C: 801C1C41
	s_addc_u32 s29, 0, s29                                     // 000000004180: 821D1D80
	s_mul_i32 s61, s3, s92                                     // 000000004184: 923D5C03
	s_mul_i32 s62, s4, s93                                     // 000000004188: 923E5D04
	s_add_u32 s60, s61, s62                                    // 00000000418C: 803C3E3D
	s_mul_hi_u32 s61, s4, s93                                  // 000000004190: 963D5D04
	s_and_b32 s61, s61, 0xffff                                 // 000000004194: 863DFF3D 0000FFFF
	s_add_u32 s36, s60, s36                                    // 00000000419C: 8024243C
	s_addc_u32 s37, s61, s37                                   // 0000000041A0: 8225253D
	s_mul_i32 s60, s50, s52                                    // 0000000041A4: 923C3432
	s_lshr_b32 s60, s60, 2                                     // 0000000041A8: 8F3C823C
	s_mov_b32 s38, s60                                         // 0000000041AC: BEA6003C
	s_mul_i32 s61, s3, s94                                     // 0000000041B0: 923D5E03
	s_mul_i32 s62, s4, s95                                     // 0000000041B4: 923E5F04
	s_add_u32 s60, s61, s62                                    // 0000000041B8: 803C3E3D
	s_mul_hi_u32 s61, s4, s95                                  // 0000000041BC: 963D5F04
	s_and_b32 s61, s61, 0xffff                                 // 0000000041C0: 863DFF3D 0000FFFF
	s_add_u32 s40, s60, s40                                    // 0000000041C8: 8028283C
	s_addc_u32 s41, s61, s41                                   // 0000000041CC: 8229293D
	s_mul_i32 s60, s50, s53                                    // 0000000041D0: 923C3532
	s_lshr_b32 s60, s60, 2                                     // 0000000041D4: 8F3C823C
	s_mov_b32 s42, s60                                         // 0000000041D8: BEAA003C
	s_mul_i32 s60, s96, s65                                    // 0000000041DC: 923C4160
	s_mul_hi_u32 s62, s96, s65                                 // 0000000041E0: 963E4160
	s_and_b32 s62, s62, 0xffff                                 // 0000000041E4: 863EFF3E 0000FFFF
	s_add_u32 s32, s60, s32                                    // 0000000041EC: 8020203C
	s_addc_u32 s33, s62, s33                                   // 0000000041F0: 8221213E
	s_mul_i32 s60, s96, s49                                    // 0000000041F4: 923C3160
	s_lshl_b32 s60, s60, 2                                     // 0000000041F8: 8E3C823C
	s_mov_b32 s34, s60                                         // 0000000041FC: BEA2003C
	s_mov_b32 s80, s8                                          // 000000004200: BED00008
	s_mov_b32 s82, s12                                         // 000000004204: BED2000C
	s_mov_b32 s84, s16                                         // 000000004208: BED40010
	s_mov_b32 s86, s20                                         // 00000000420C: BED60014
	s_mov_b32 s81, s9                                          // 000000004210: BED10009
	s_mov_b32 s83, s13                                         // 000000004214: BED3000D
	s_mov_b32 s85, s17                                         // 000000004218: BED50011
	s_mov_b32 s87, s21                                         // 00000000421C: BED70015
	s_add_u32 s71, 63, s50                                     // 000000004220: 804732BF
	s_mov_b32 s74, 64                                          // 000000004224: BECA00C0
	v_cvt_f32_u32_e32 v28, s74                                 // 000000004228: 7E380C4A
	s_sub_i32 s60, 0, s74                                      // 00000000422C: 81BC4A80
	v_rcp_iflag_f32_e32 v28, v28                               // 000000004230: 7E38471C
	s_nop 0                                                    // 000000004234: BF800000
	v_mul_f32_e32 v28, 0x4f7ffffe, v28                         // 000000004238: 0A3838FF 4F7FFFFE
	v_cvt_u32_f32_e32 v28, v28                                 // 000000004240: 7E380F1C
	v_mul_lo_u32 v29, s60, v28                                 // 000000004244: D285001D 0002383C
	v_mul_hi_u32 v29, v28, v29                                 // 00000000424C: D286001D 00023B1C
	v_add_u32_e32 v28, v28, v29                                // 000000004254: 68383B1C
	v_mul_hi_u32 v28, s71, v28                                 // 000000004258: D286001C 00023847
	v_mul_lo_u32 v29, v28, s74                                 // 000000004260: D285001D 0000951C
	v_sub_u32_e32 v31, s71, v29                                // 000000004268: 6A3E3A47
	v_add_u32_e32 v30, 1, v28                                  // 00000000426C: 683C3881
	v_cmp_le_u32_e32 vcc, s74, v31                             // 000000004270: 7D963E4A
	v_subrev_u32_e32 v29, s74, v31                             // 000000004274: 6C3A3E4A
	s_nop 0                                                    // 000000004278: BF800000
	v_cndmask_b32_e32 v28, v28, v30, vcc                       // 00000000427C: 00383D1C
	v_cndmask_b32_e32 v31, v31, v29, vcc                       // 000000004280: 003E3B1F
	v_add_u32_e32 v29, 1, v28                                  // 000000004284: 683A3881
	v_cmp_le_u32_e32 vcc, s74, v31                             // 000000004288: 7D963E4A
	s_nop 1                                                    // 00000000428C: BF800001
	v_cndmask_b32_e32 v31, v28, v29, vcc                       // 000000004290: 003E3B1C
	s_nop 3                                                    // 000000004294: BF800003
	v_readfirstlane_b32 s77, v31                               // 000000004298: 7E9A051F
	s_nop 3                                                    // 00000000429C: BF800003
	v_mov_b32_e32 v28, s47                                     // 0000000042A0: 7E38022F
	v_mul_f32_e32 v28, s48, v28                                // 0000000042A4: 0A383830
	s_mov_b32 s58, s49                                         // 0000000042A8: BEBA0031
	s_mov_b32 s59, 0                                           // 0000000042AC: BEBB0080
	s_mov_b32 s63, 0x5040100                                   // 0000000042B0: BEBF00FF 05040100
	s_mov_b32 s64, 0x7060302                                   // 0000000042B8: BEC000FF 07060302
	v_readfirstlane_b32 s57, v28                               // 0000000042C0: 7E72051C
	v_mov_b32_e32 v30, 0x3020706                               // 0000000042C4: 7E3C02FF 03020706
	v_mov_b32_e32 v28, s63                                     // 0000000042CC: 7E38023F
	v_and_b32_e32 v29, 1, v0                                   // 0000000042D0: 263A0081
	v_cmp_eq_u32_e32 vcc, 1, v29                               // 0000000042D4: 7D943A81
	s_mul_i32 s60, s96, 64                                     // 0000000042D8: 923CC060
	s_mov_b32 s67, s60                                         // 0000000042DC: BEC3003C
	v_cndmask_b32_e32 v15, v28, v30, vcc                       // 0000000042E0: 001E3D1C
	s_cmp_lt_u32 s46, 2                                        // 0000000042E4: BF0A822E
	s_cselect_b32 s24, s24, s28                                // 0000000042E8: 85181C18
	s_cselect_b32 s25, s25, s29                                // 0000000042EC: 85191D19
	s_cselect_b32 s26, s26, s30                                // 0000000042F0: 851A1E1A
	s_cselect_b32 s27, s27, s31                                // 0000000042F4: 851B1F1B
	s_lshr_b32 s60, s46, 1                                     // 0000000042F8: 8F3C812E
	s_lshl_b32 s60, s60, 8                                     // 0000000042FC: 8E3C883C
	s_add_u32 s78, 0x9f00, s60                                 // 000000004300: 804E3CFF 00009F00
	s_add_u32 s79, 0x200, s78                                  // 000000004308: 804F4EFF 00000200
	s_mov_b32 s75, 0                                           // 000000004310: BECB0080
	s_mov_b32 s76, 1                                           // 000000004314: BECC0081
	s_lshl_b32 s60, s2, 1                                      // 000000004318: 8E3C8102
	s_add_u32 s60, 1, s60                                      // 00000000431C: 803C3C81
	s_cmp_ge_i32 s60, s77                                      // 000000004320: BF034D3C
	s_cselect_b32 s76, s76, 2                                  // 000000004324: 854C824C
	v_lshrrev_b32_e32 v28, 2, v0                               // 000000004328: 20380082
	v_and_b32_e32 v29, 3, v28                                  // 00000000432C: 263A3883
	v_lshrrev_b32_e32 v30, 3, v28                              // 000000004330: 203C3883
	v_lshlrev_b32_e32 v30, 2, v30                              // 000000004334: 243C3C82
	v_add_u32_e32 v28, v30, v29                                // 000000004338: 68383B1E
	v_mov_b32_e32 v30, s96                                     // 00000000433C: 7E3C0260
	v_mov_b32_e32 v29, 0x80                                    // 000000004340: 7E3A02FF 00000080
	v_sub_u32_e32 v30, v30, v29                                // 000000004348: 6A3C3B1E
	v_lshrrev_b32_e32 v30, 3, v30                              // 00000000434C: 203C3C83
	v_cmp_lt_u32_e64 s[88:89], v28, v30                        // 000000004350: D0C90058 00023D1C
	v_and_b32_e32 v28, 31, v0                                  // 000000004358: 2638009F
	v_lshrrev_b32_e32 v28, 3, v28                              // 00000000435C: 20383883
	v_mov_b32_e32 v29, s96                                     // 000000004360: 7E3A0260
	v_mov_b32_e32 v30, 0x80                                    // 000000004364: 7E3C02FF 00000080
	v_sub_u32_e32 v29, v29, v30                                // 00000000436C: 6A3A3D1D
	v_lshrrev_b32_e32 v29, 3, v29                              // 000000004370: 203A3A83
	v_cmp_lt_u32_e64 s[92:93], v28, v29                        // 000000004374: D0C9005C 00023B1C
	v_add_u32_e32 v28, 4, v28                                  // 00000000437C: 68383884
	v_cmp_lt_u32_e64 s[94:95], v28, v29                        // 000000004380: D0C9005E 00023B1C

0000000000004388 <label_0162>:
	s_mov_b32 m0, s78                                          // 000000004388: BEFC004E
	s_mov_b32 s66, 0                                           // 00000000438C: BEC20080
	v_mov_b32_e32 v159, 0xff800000                             // 000000004390: 7F3E02FF FF800000
	s_mov_b32 s74, 0                                           // 000000004398: BECA0080
	s_mul_i32 s68, 4, s5                                       // 00000000439C: 92440584
	s_mul_i32 s97, 4, s51                                      // 0000000043A0: 92613384
	s_mov_b32 s69, 16                                          // 0000000043A4: BEC50090
	s_mul_i32 s59, 64, s2                                      // 0000000043A8: 923B02C0
	s_mul_i32 s54, s6, s59                                     // 0000000043AC: 92363B06
	s_sub_i32 s61, s50, s59                                    // 0000000043B0: 81BD3B32
	s_mul_i32 s62, s6, s61                                     // 0000000043B4: 923E3D06
	s_lshr_b32 s62, s62, 2                                     // 0000000043B8: 8F3E823E
	s_mov_b32 s14, s62                                         // 0000000043BC: BE8E003E
	s_add_u32 s12, s54, s82                                    // 0000000043C0: 800C5236
	s_addc_u32 s13, 0, s83                                     // 0000000043C4: 820D5380
	s_mul_i32 s54, s7, s59                                     // 0000000043C8: 92363B07
	s_mul_i32 s62, s7, s61                                     // 0000000043CC: 923E3D07
	s_lshr_b32 s62, s62, 2                                     // 0000000043D0: 8F3E823E
	s_mov_b32 s18, s62                                         // 0000000043D4: BE92003E
	s_add_u32 s16, s54, s84                                    // 0000000043D8: 80105436
	s_addc_u32 s17, 0, s85                                     // 0000000043DC: 82115580
	s_mov_b32 s71, s6                                          // 0000000043E0: BEC70006
	v_lshrrev_b32_e32 v28, 4, v0                               // 0000000043E4: 20380084
	v_and_b32_e32 v29, 1, v28                                  // 0000000043E8: 263A3881
	v_lshlrev_b32_e32 v29, 1, v29                              // 0000000043EC: 243A3A81
	v_mul_i32_i24_e32 v29, s71, v29                            // 0000000043F0: 0C3A3A47
	v_and_b32_e32 v30, 2, v28                                  // 0000000043F4: 263C3882
	v_lshlrev_b32_e32 v30, 5, v30                              // 0000000043F8: 243C3C85
	v_add_u32_e32 v29, v30, v29                                // 0000000043FC: 683A3B1E
	v_and_b32_e32 v28, 15, v0                                  // 000000004400: 2638008F
	v_lshlrev_b32_e32 v28, 2, v28                              // 000000004404: 24383882
	v_add_u32_e32 v1, v28, v29                                 // 000000004408: 68023B1C
	s_mul_i32 s60, s46, s71                                    // 00000000440C: 923C472E
	s_mul_i32 s60, s60, 4                                      // 000000004410: 923C843C
	v_add_u32_e32 v1, s60, v1                                  // 000000004414: 6802023C
	v_add_u32_e32 v2, s71, v1                                  // 000000004418: 68040247
	s_mov_b32 s71, s7                                          // 00000000441C: BEC70007
	v_lshrrev_b32_e32 v28, 4, v0                               // 000000004420: 20380084
	v_and_b32_e32 v29, 1, v28                                  // 000000004424: 263A3881
	v_lshlrev_b32_e32 v29, 1, v29                              // 000000004428: 243A3A81
	v_mul_i32_i24_e32 v29, s71, v29                            // 00000000442C: 0C3A3A47
	v_and_b32_e32 v30, 2, v28                                  // 000000004430: 263C3882
	v_lshlrev_b32_e32 v30, 5, v30                              // 000000004434: 243C3C85
	v_add_u32_e32 v29, v30, v29                                // 000000004438: 683A3B1E
	v_and_b32_e32 v28, 15, v0                                  // 00000000443C: 2638008F
	v_lshlrev_b32_e32 v28, 2, v28                              // 000000004440: 24383882
	v_add_u32_e32 v208, v28, v29                               // 000000004444: 69A03B1C
	s_mul_i32 s60, s46, s71                                    // 000000004448: 923C472E
	s_mul_i32 s60, s60, 4                                      // 00000000444C: 923C843C
	v_add_u32_e32 v208, s60, v208                              // 000000004450: 69A1A03C
	v_add_u32_e32 v209, s71, v208                              // 000000004454: 69A3A047
	v_lshrrev_b32_e32 v1, 2, v1                                // 000000004458: 20020282
	v_lshrrev_b32_e32 v2, 2, v2                                // 00000000445C: 20040482
	v_lshrrev_b32_e32 v208, 2, v208                            // 000000004460: 21A1A082
	v_lshrrev_b32_e32 v209, 2, v209                            // 000000004464: 21A3A282
	s_mov_b32 s70, s52                                         // 000000004468: BEC60034
	v_lshrrev_b32_e32 v28, 3, v0                               // 00000000446C: 20380083
	v_mul_i32_i24_e32 v3, s70, v28                             // 000000004470: 0C063846
	v_lshrrev_b32_e32 v3, 2, v3                                // 000000004474: 20060682
	v_and_b32_e32 v28, 7, v0                                   // 000000004478: 26380087
	v_lshlrev_b32_e32 v29, 2, v28                              // 00000000447C: 243A3882
	v_add_u32_e32 v3, v29, v3                                  // 000000004480: 6806071D
	s_mul_i32 s60, 16, s70                                     // 000000004484: 923C4690
	s_mul_i32 s60, s46, s60                                    // 000000004488: 923C3C2E
	v_lshlrev_b32_e32 v3, 2, v3                                // 00000000448C: 24060682
	v_add_u32_e32 v3, s60, v3                                  // 000000004490: 6806063C
	s_mul_i32 s60, 8, s70                                      // 000000004494: 923C4688
	v_add_u32_e32 v4, s60, v3                                  // 000000004498: 6808063C
	s_mul_i32 s60, s52, s59                                    // 00000000449C: 923C3B34
	v_add_u32_e32 v3, s60, v3                                  // 0000000044A0: 6806063C
	v_lshrrev_b32_e32 v3, 2, v3                                // 0000000044A4: 20060682
	v_add_u32_e32 v4, s60, v4                                  // 0000000044A8: 6808083C
	v_lshrrev_b32_e32 v4, 2, v4                                // 0000000044AC: 20080882
	s_mov_b32 s70, s53                                         // 0000000044B0: BEC60035
	v_lshrrev_b32_e32 v28, 3, v0                               // 0000000044B4: 20380083
	v_mul_i32_i24_e32 v5, s70, v28                             // 0000000044B8: 0C0A3846
	v_lshrrev_b32_e32 v5, 2, v5                                // 0000000044BC: 200A0A82
	v_and_b32_e32 v28, 7, v0                                   // 0000000044C0: 26380087
	v_lshlrev_b32_e32 v29, 2, v28                              // 0000000044C4: 243A3882
	v_add_u32_e32 v5, v29, v5                                  // 0000000044C8: 680A0B1D
	s_mul_i32 s60, 16, s70                                     // 0000000044CC: 923C4690
	s_mul_i32 s60, s46, s60                                    // 0000000044D0: 923C3C2E
	v_lshlrev_b32_e32 v5, 2, v5                                // 0000000044D4: 240A0A82
	v_add_u32_e32 v5, s60, v5                                  // 0000000044D8: 680A0A3C
	s_mul_i32 s60, 8, s70                                      // 0000000044DC: 923C4688
	v_add_u32_e32 v6, s60, v5                                  // 0000000044E0: 680C0A3C
	s_mul_i32 s60, s53, s59                                    // 0000000044E4: 923C3B35
	v_add_u32_e32 v5, s60, v5                                  // 0000000044E8: 680A0A3C
	v_lshrrev_b32_e32 v5, 2, v5                                // 0000000044EC: 200A0A82
	v_add_u32_e32 v6, s60, v6                                  // 0000000044F0: 680C0C3C
	v_lshrrev_b32_e32 v6, 2, v6                                // 0000000044F4: 200C0C82
	s_cmp_ge_i32 s59, s49                                      // 0000000044F8: BF03313B
	s_cselect_b32 s59, s49, s59                                // 0000000044FC: 853B3B31
	s_add_u32 s73, 16, s59                                     // 000000004500: 80493B90
	s_mul_i32 s55, s5, s59                                     // 000000004504: 92373B05
	s_sub_i32 s61, s49, s59                                    // 000000004508: 81BD3B31
	s_mul_i32 s62, s5, s61                                     // 00000000450C: 923E3D05
	s_lshr_b32 s62, s62, 2                                     // 000000004510: 8F3E823E
	s_mov_b32 s10, s62                                         // 000000004514: BE8A003E
	s_add_u32 s8, s55, s80                                     // 000000004518: 80085037
	s_addc_u32 s9, 0, s81                                      // 00000000451C: 82095180
	s_mul_i32 s56, s51, s59                                    // 000000004520: 92383B33
	s_mul_i32 s62, s51, s61                                    // 000000004524: 923E3D33
	s_lshr_b32 s62, s62, 2                                     // 000000004528: 8F3E823E
	s_mov_b32 s22, s62                                         // 00000000452C: BE96003E
	s_add_u32 s20, s56, s86                                    // 000000004530: 80145638
	s_addc_u32 s21, 0, s87                                     // 000000004534: 82155780
	s_mul_i32 s65, s59, 4                                      // 000000004538: 9241843B
	v_and_b32_e32 v9, 15, v0                                   // 00000000453C: 2612008F
	v_lshlrev_b32_e32 v9, 2, v9                                // 000000004540: 24121282
	v_add_u32_e32 v9, s65, v9                                  // 000000004544: 68121241
	v_lshrrev_b32_e32 v9, 2, v9                                // 000000004548: 20121282
	v_lshrrev_b32_e32 v28, 5, v0                               // 00000000454C: 20380085
	v_mul_i32_i24_e64 v29, s96, 2                              // 000000004550: D106001D 00010460
	v_mul_i32_i24_e32 v7, v29, v28                             // 000000004558: 0C0E391D
	v_and_b32_e32 v28, 31, v0                                  // 00000000455C: 2638009F
	v_add_u32_e32 v7, v28, v7                                  // 000000004560: 680E0F1C
	s_mul_i32 s60, 4, s96                                      // 000000004564: 923C6084
	s_mul_i32 s60, s46, s60                                    // 000000004568: 923C3C2E
	v_add_u32_e32 v7, s60, v7                                  // 00000000456C: 680E0E3C
	v_lshlrev_b32_e32 v7, 2, v7                                // 000000004570: 240E0E82
	v_mul_i32_i24_e32 v29, 2, v29                              // 000000004574: 0C3A3A82
	v_add_u32_e32 v8, v29, v7                                  // 000000004578: 68100F1D
	s_mul_i32 s60, s96, s65                                    // 00000000457C: 923C4160
	v_add_u32_e32 v7, s60, v7                                  // 000000004580: 680E0E3C
	v_add_u32_e32 v8, s60, v8                                  // 000000004584: 6810103C
	s_mul_i32 s60, 64, s2                                      // 000000004588: 923C02C0
	s_sub_i32 s98, s50, s60                                    // 00000000458C: 81E23C32
	v_and_b32_e32 v28, 31, v0                                  // 000000004590: 2638009F
	v_lshrrev_b32_e32 v28, 1, v28                              // 000000004594: 20383881
	v_and_b32_e32 v29, 1, v28                                  // 000000004598: 263A3881
	v_lshlrev_b32_e32 v29, 4, v29                              // 00000000459C: 243A3A84
	v_and_b32_e32 v30, 2, v28                                  // 0000000045A0: 263C3882
	v_lshlrev_b32_e32 v30, 2, v30                              // 0000000045A4: 243C3C82
	v_add_u32_e32 v29, v30, v29                                // 0000000045A8: 683A3B1E
	v_and_b32_e32 v30, 12, v28                                 // 0000000045AC: 263C388C
	v_lshrrev_b32_e32 v30, 1, v30                              // 0000000045B0: 203C3C81
	v_add_u32_e32 v29, v30, v29                                // 0000000045B4: 683A3B1E
	v_lshrrev_b32_e32 v28, 5, v0                               // 0000000045B8: 20380085
	v_mul_i32_i24_e32 v30, 0x80, v28                           // 0000000045BC: 0C3C38FF 00000080
	v_add_u32_e32 v29, v30, v29                                // 0000000045C4: 683A3B1E
	v_and_b32_e32 v30, 1, v0                                   // 0000000045C8: 263C0081
	v_add_u32_e32 v11, v30, v29                                // 0000000045CC: 68163B1E
	s_mul_i32 s60, s46, 32                                     // 0000000045D0: 923CA02E
	v_add_u32_e32 v11, s60, v11                                // 0000000045D4: 6816163C
	v_lshlrev_b32_e32 v11, 2, v11                              // 0000000045D8: 24161682
	v_lshrrev_b32_e32 v28, 4, v0                               // 0000000045DC: 20380084
	v_and_b32_e32 v29, 1, v28                                  // 0000000045E0: 263A3881
	v_lshlrev_b32_e32 v29, 4, v29                              // 0000000045E4: 243A3A84
	v_and_b32_e32 v30, 2, v28                                  // 0000000045E8: 263C3882
	v_mul_i32_i24_e32 v30, 4, v30                              // 0000000045EC: 0C3C3C84
	v_add_u32_e32 v29, v30, v29                                // 0000000045F0: 683A3B1E
	v_and_b32_e32 v28, 15, v0                                  // 0000000045F4: 2638008F
	v_lshrrev_b32_e32 v30, 2, v28                              // 0000000045F8: 203C3882
	v_lshlrev_b32_e32 v30, 5, v30                              // 0000000045FC: 243C3C85
	v_add_u32_e32 v29, v30, v29                                // 000000004600: 683A3B1E
	v_and_b32_e32 v28, 3, v0                                   // 000000004604: 26380083
	v_and_b32_e32 v30, 1, v28                                  // 000000004608: 263C3881
	v_mul_i32_i24_e32 v30, 0x108, v30                          // 00000000460C: 0C3C3CFF 00000108
	v_add_u32_e32 v29, v30, v29                                // 000000004614: 683A3B1E
	v_and_b32_e32 v30, 2, v28                                  // 000000004618: 263C3882
	v_lshlrev_b32_e32 v30, 1, v30                              // 00000000461C: 243C3C81
	v_add_u32_e32 v10, v30, v29                                // 000000004620: 68143B1E
	v_lshlrev_b32_e32 v10, 2, v10                              // 000000004624: 24141482
	s_mul_i32 s60, s46, 0x1980                                 // 000000004628: 923CFF2E 00001980
	v_add_u32_e32 v22, s60, v10                                // 000000004630: 682C143C
	v_lshrrev_b32_e32 v28, 5, v0                               // 000000004634: 20380085
	v_mul_i32_i24_e32 v13, 0x80, v28                           // 000000004638: 0C1A38FF 00000080
	v_and_b32_e32 v28, 31, v0                                  // 000000004640: 2638009F
	v_and_b32_e32 v29, 7, v28                                  // 000000004644: 263A3887
	v_and_b32_e32 v30, 1, v29                                  // 000000004648: 263C3A81
	v_lshlrev_b32_e32 v30, 2, v30                              // 00000000464C: 243C3C82
	v_add_u32_e32 v13, v30, v13                                // 000000004650: 681A1B1E
	v_and_b32_e32 v30, 2, v29                                  // 000000004654: 263C3A82
	v_lshlrev_b32_e32 v30, 3, v30                              // 000000004658: 243C3C83
	v_add_u32_e32 v13, v30, v13                                // 00000000465C: 681A1B1E
	v_and_b32_e32 v30, 4, v29                                  // 000000004660: 263C3A84
	v_lshlrev_b32_e32 v30, 1, v30                              // 000000004664: 243C3C81
	v_add_u32_e32 v13, v30, v13                                // 000000004668: 681A1B1E
	v_lshrrev_b32_e32 v29, 3, v28                              // 00000000466C: 203A3883
	v_and_b32_e32 v30, 1, v29                                  // 000000004670: 263C3A81
	v_lshlrev_b32_e32 v30, 1, v30                              // 000000004674: 243C3C81
	v_add_u32_e32 v13, v30, v13                                // 000000004678: 681A1B1E
	v_and_b32_e32 v30, 2, v29                                  // 00000000467C: 263C3A82
	v_lshrrev_b32_e32 v30, 1, v30                              // 000000004680: 203C3C81
	v_add_u32_e32 v13, v30, v13                                // 000000004684: 681A1B1E
	s_mul_i32 s60, s46, 32                                     // 000000004688: 923CA02E
	v_add_u32_e32 v13, s60, v13                                // 00000000468C: 681A1A3C
	v_lshlrev_b32_e32 v13, 2, v13                              // 000000004690: 241A1A82
	v_and_b32_e32 v28, 15, v0                                  // 000000004694: 2638008F
	v_and_b32_e32 v30, 1, v28                                  // 000000004698: 263C3881
	v_mul_i32_i24_e32 v12, 0x108, v30                          // 00000000469C: 0C183CFF 00000108
	v_and_b32_e32 v30, 2, v28                                  // 0000000046A4: 263C3882
	v_lshlrev_b32_e32 v30, 1, v30                              // 0000000046A8: 243C3C81
	v_add_u32_e32 v12, v30, v12                                // 0000000046AC: 6818191E
	v_and_b32_e32 v30, 4, v28                                  // 0000000046B0: 263C3884
	v_lshlrev_b32_e32 v30, 2, v30                              // 0000000046B4: 243C3C82
	v_add_u32_e32 v12, v30, v12                                // 0000000046B8: 6818191E
	v_and_b32_e32 v30, 8, v28                                  // 0000000046BC: 263C3888
	v_add_u32_e32 v12, v30, v12                                // 0000000046C0: 6818191E
	v_lshrrev_b32_e32 v28, 4, v0                               // 0000000046C4: 20380084
	v_and_b32_e32 v30, 1, v28                                  // 0000000046C8: 263C3881
	v_lshlrev_b32_e32 v30, 5, v30                              // 0000000046CC: 243C3C85
	v_add_u32_e32 v12, v30, v12                                // 0000000046D0: 6818191E
	v_and_b32_e32 v29, 2, v28                                  // 0000000046D4: 263A3882
	v_mul_i32_i24_e32 v30, 32, v29                             // 0000000046D8: 0C3C3AA0
	v_add_u32_e32 v12, v30, v12                                // 0000000046DC: 6818191E
	v_lshlrev_b32_e32 v12, 2, v12                              // 0000000046E0: 24181882
	v_lshrrev_b32_e32 v28, 4, v0                               // 0000000046E4: 20380084
	v_mul_i32_i24_e32 v21, 4, v28                              // 0000000046E8: 0C2A3884
	v_and_b32_e32 v29, 3, v0                                   // 0000000046EC: 263A0083
	v_add_u32_e32 v21, v29, v21                                // 0000000046F0: 682A2B1D
	v_lshlrev_b32_e32 v21, 2, v21                              // 0000000046F4: 242A2A82
	v_lshrrev_b32_e32 v28, 5, v0                               // 0000000046F8: 20380085
	v_mul_i32_i24_e32 v26, 0x104, v28                          // 0000000046FC: 0C3438FF 00000104
	v_and_b32_e32 v28, 31, v0                                  // 000000004704: 2638009F
	v_and_b32_e32 v29, 7, v28                                  // 000000004708: 263A3887
	v_lshlrev_b32_e32 v30, 2, v29                              // 00000000470C: 243C3A82
	v_add_u32_e32 v26, v30, v26                                // 000000004710: 6834351E
	v_lshrrev_b32_e32 v29, 3, v28                              // 000000004714: 203A3883
	v_and_b32_e32 v30, 1, v29                                  // 000000004718: 263C3A81
	v_mul_i32_i24_e32 v30, 0x82, v30                           // 00000000471C: 0C3C3CFF 00000082
	v_add_u32_e32 v26, v30, v26                                // 000000004724: 6834351E
	v_and_b32_e32 v30, 2, v29                                  // 000000004728: 263C3A82
	v_lshrrev_b32_e32 v30, 1, v30                              // 00000000472C: 203C3C81
	v_add_u32_e32 v26, v30, v26                                // 000000004730: 6834351E
	s_mul_i32 s60, s46, 32                                     // 000000004734: 923CA02E
	v_add_u32_e32 v26, s60, v26                                // 000000004738: 6834343C
	v_lshlrev_b32_e32 v26, 2, v26                              // 00000000473C: 24343482
	v_lshrrev_b32_e32 v28, 5, v0                               // 000000004740: 20380085
	v_mul_i32_i24_e32 v23, 0x618, v28                          // 000000004744: 0C2E38FF 00000618
	v_and_b32_e32 v28, 31, v0                                  // 00000000474C: 2638009F
	v_lshlrev_b32_e32 v28, 1, v28                              // 000000004750: 24383881
	v_add_u32_e32 v23, v28, v23                                // 000000004754: 682E2F1C
	s_mul_i32 s60, s46, 0x186                                  // 000000004758: 923CFF2E 00000186
	v_add_u32_e32 v23, s60, v23                                // 000000004760: 682E2E3C
	v_lshlrev_b32_e32 v23, 2, v23                              // 000000004764: 242E2E82
	v_lshrrev_b32_e32 v28, 4, v0                               // 000000004768: 20380084
	v_and_b32_e32 v29, 1, v28                                  // 00000000476C: 263A3881
	v_mul_i32_i24_e32 v19, 0x100, v29                          // 000000004770: 0C263AFF 00000100
	v_and_b32_e32 v29, 2, v28                                  // 000000004778: 263A3882
	v_mul_i32_i24_e32 v29, 64, v29                             // 00000000477C: 0C3A3AC0
	v_add_u32_e32 v19, v29, v19                                // 000000004780: 6826271D
	v_and_b32_e32 v28, 15, v0                                  // 000000004784: 2638008F
	v_mul_i32_i24_e32 v29, 2, v28                              // 000000004788: 0C3A3882
	v_add_u32_e32 v19, v29, v19                                // 00000000478C: 6826271D
	s_mul_i32 s60, s46, 32                                     // 000000004790: 923CA02E
	v_add_u32_e32 v19, s60, v19                                // 000000004794: 6826263C
	v_lshlrev_b32_e32 v19, 2, v19                              // 000000004798: 24262682
	v_lshlrev_b32_e32 v20, 1, v0                               // 00000000479C: 24280081
	s_mul_i32 s60, s46, 0x300                                  // 0000000047A0: 923CFF2E 00000300
	v_add_u32_e32 v20, s60, v20                                // 0000000047A8: 6828283C
	v_lshlrev_b32_e32 v20, 2, v20                              // 0000000047AC: 24282882
	v_lshrrev_b32_e32 v28, 5, v0                               // 0000000047B0: 20380085
	v_mul_i32_i24_e32 v17, 64, v28                             // 0000000047B4: 0C2238C0
	v_and_b32_e32 v28, 31, v0                                  // 0000000047B8: 2638009F
	v_and_b32_e32 v28, 3, v28                                  // 0000000047BC: 26383883
	v_and_b32_e32 v29, 1, v28                                  // 0000000047C0: 263A3881
	v_mul_i32_i24_e32 v29, 4, v29                              // 0000000047C4: 0C3A3A84
	v_add_u32_e32 v17, v29, v17                                // 0000000047C8: 6822231D
	v_and_b32_e32 v29, 2, v28                                  // 0000000047CC: 263A3882
	v_mul_i32_i24_e32 v29, 0x44, v29                           // 0000000047D0: 0C3A3AFF 00000044
	v_add_u32_e32 v17, v29, v17                                // 0000000047D8: 6822231D
	v_and_b32_e32 v28, 31, v0                                  // 0000000047DC: 2638009F
	v_lshrrev_b32_e32 v28, 2, v28                              // 0000000047E0: 20383882
	v_lshrrev_b32_e32 v30, 2, v28                              // 0000000047E4: 203C3882
	v_mul_i32_i24_e32 v29, 16, v30                             // 0000000047E8: 0C3A3C90
	v_add_u32_e32 v17, v29, v17                                // 0000000047EC: 6822231D
	v_and_b32_e32 v29, 2, v28                                  // 0000000047F0: 263A3882
	v_lshlrev_b32_e32 v29, 4, v29                              // 0000000047F4: 243A3A84
	v_add_u32_e32 v17, v29, v17                                // 0000000047F8: 6822231D
	v_and_b32_e32 v29, 1, v28                                  // 0000000047FC: 263A3881
	v_xor_b32_e32 v29, v30, v29                                // 000000004800: 2A3A3B1E
	v_mul_i32_i24_e32 v29, 8, v29                              // 000000004804: 0C3A3A88
	v_add_u32_e32 v17, v29, v17                                // 000000004808: 6822231D
	v_lshlrev_b32_e32 v17, 2, v17                              // 00000000480C: 24222282
	v_lshrrev_b32_e32 v28, 5, v0                               // 000000004810: 20380085
	v_mul_i32_i24_e32 v18, 32, v28                             // 000000004814: 0C2438A0
	v_and_b32_e32 v28, 31, v0                                  // 000000004818: 2638009F
	v_and_b32_e32 v28, 3, v28                                  // 00000000481C: 26383883
	v_and_b32_e32 v29, 1, v28                                  // 000000004820: 263A3881
	v_mul_i32_i24_e32 v29, 4, v29                              // 000000004824: 0C3A3A84
	v_add_u32_e32 v18, v29, v18                                // 000000004828: 6824251D
	v_and_b32_e32 v29, 2, v28                                  // 00000000482C: 263A3882
	v_lshrrev_b32_e32 v29, 1, v29                              // 000000004830: 203A3A81
	v_add_u32_e32 v18, v29, v18                                // 000000004834: 6824251D
	v_and_b32_e32 v28, 31, v0                                  // 000000004838: 2638009F
	v_lshrrev_b32_e32 v28, 2, v28                              // 00000000483C: 20383882
	v_and_b32_e32 v30, 1, v28                                  // 000000004840: 263C3881
	v_mul_i32_i24_e32 v29, 16, v30                             // 000000004844: 0C3A3C90
	v_add_u32_e32 v18, v29, v18                                // 000000004848: 6824251D
	v_and_b32_e32 v29, 2, v28                                  // 00000000484C: 263A3882
	v_add_u32_e32 v18, v29, v18                                // 000000004850: 6824251D
	v_lshrrev_b32_e32 v29, 2, v28                              // 000000004854: 203A3882
	v_xor_b32_e32 v29, v30, v29                                // 000000004858: 2A3A3B1E
	v_mul_i32_i24_e32 v29, 8, v29                              // 00000000485C: 0C3A3A88
	v_add_u32_e32 v18, v29, v18                                // 000000004860: 6824251D
	s_and_b32 s60, 1, s46                                      // 000000004864: 863C2E81
	s_mul_i32 s60, s60, 64                                     // 000000004868: 923CC03C
	s_lshr_b32 s61, s46, 1                                     // 00000000486C: 8F3D812E
	s_mul_i32 s61, s61, 0x120                                  // 000000004870: 923DFF3D 00000120
	s_add_u32 s60, s60, s61                                    // 000000004878: 803C3D3C
	v_add_u32_e32 v18, s60, v18                                // 00000000487C: 6824243C
	v_lshlrev_b32_e32 v18, 2, v18                              // 000000004880: 24242482
	buffer_load_dword v160, v1, s[12:15], 0 idxen              // 000000004884: E0502000 8003A001
	buffer_load_dword v161, v2, s[12:15], 0 idxen              // 00000000488C: E0502000 8003A102
	buffer_load_dword v162, v1, s[12:15], 0 idxen offset:128   // 000000004894: E0502080 8003A201
	buffer_load_dword v163, v2, s[12:15], 0 idxen offset:128   // 00000000489C: E0502080 8003A302
	v_mov_b32_e32 v164, 0                                      // 0000000048A4: 7F480280
	s_mov_b64 exec, s[88:89]                                   // 0000000048A8: BEFE0158
	buffer_load_dword v164, v1, s[12:15], 0 idxen offset:256   // 0000000048AC: E0502100 8003A401
	s_mov_b32 exec_lo, -1                                      // 0000000048B4: BEFE00C1
	s_mov_b32 exec_hi, -1                                      // 0000000048B8: BEFF00C1
	v_mov_b32_e32 v165, 0                                      // 0000000048BC: 7F4A0280
	s_mov_b64 exec, s[88:89]                                   // 0000000048C0: BEFE0158
	buffer_load_dword v165, v2, s[12:15], 0 idxen offset:256   // 0000000048C4: E0502100 8003A502
	s_mov_b32 exec_lo, -1                                      // 0000000048CC: BEFE00C1
	s_mov_b32 exec_hi, -1                                      // 0000000048D0: BEFF00C1
	s_mul_i32 s60, 4, s6                                       // 0000000048D4: 923C0684
	v_add_u32_e32 v1, s60, v1                                  // 0000000048D8: 6802023C
	v_add_u32_e32 v2, s60, v2                                  // 0000000048DC: 6804043C
	buffer_load_dword v166, v1, s[12:15], 0 idxen              // 0000000048E0: E0502000 8003A601
	buffer_load_dword v167, v2, s[12:15], 0 idxen              // 0000000048E8: E0502000 8003A702
	buffer_load_dword v168, v1, s[12:15], 0 idxen offset:128   // 0000000048F0: E0502080 8003A801
	buffer_load_dword v169, v2, s[12:15], 0 idxen offset:128   // 0000000048F8: E0502080 8003A902
	v_mov_b32_e32 v170, 0                                      // 000000004900: 7F540280
	s_mov_b64 exec, s[88:89]                                   // 000000004904: BEFE0158
	buffer_load_dword v170, v1, s[12:15], 0 idxen offset:256   // 000000004908: E0502100 8003AA01
	s_mov_b32 exec_lo, -1                                      // 000000004910: BEFE00C1
	s_mov_b32 exec_hi, -1                                      // 000000004914: BEFF00C1
	v_mov_b32_e32 v171, 0                                      // 000000004918: 7F560280
	s_mov_b64 exec, s[88:89]                                   // 00000000491C: BEFE0158
	buffer_load_dword v171, v2, s[12:15], 0 idxen offset:256   // 000000004920: E0502100 8003AB02
	s_mov_b32 exec_lo, -1                                      // 000000004928: BEFE00C1
	s_mov_b32 exec_hi, -1                                      // 00000000492C: BEFF00C1
	s_mul_i32 s60, 4, s6                                       // 000000004930: 923C0684
	v_add_u32_e32 v1, s60, v1                                  // 000000004934: 6802023C
	v_add_u32_e32 v2, s60, v2                                  // 000000004938: 6804043C
	buffer_load_dword v172, v1, s[12:15], 0 idxen              // 00000000493C: E0502000 8003AC01
	buffer_load_dword v173, v2, s[12:15], 0 idxen              // 000000004944: E0502000 8003AD02
	buffer_load_dword v174, v1, s[12:15], 0 idxen offset:128   // 00000000494C: E0502080 8003AE01
	buffer_load_dword v175, v2, s[12:15], 0 idxen offset:128   // 000000004954: E0502080 8003AF02
	v_mov_b32_e32 v176, 0                                      // 00000000495C: 7F600280
	s_mov_b64 exec, s[88:89]                                   // 000000004960: BEFE0158
	buffer_load_dword v176, v1, s[12:15], 0 idxen offset:256   // 000000004964: E0502100 8003B001
	s_mov_b32 exec_lo, -1                                      // 00000000496C: BEFE00C1
	s_mov_b32 exec_hi, -1                                      // 000000004970: BEFF00C1
	v_mov_b32_e32 v177, 0                                      // 000000004974: 7F620280
	s_mov_b64 exec, s[88:89]                                   // 000000004978: BEFE0158
	buffer_load_dword v177, v2, s[12:15], 0 idxen offset:256   // 00000000497C: E0502100 8003B102
	s_mov_b32 exec_lo, -1                                      // 000000004984: BEFE00C1
	s_mov_b32 exec_hi, -1                                      // 000000004988: BEFF00C1
	s_mul_i32 s60, 4, s6                                       // 00000000498C: 923C0684
	v_add_u32_e32 v1, s60, v1                                  // 000000004990: 6802023C
	v_add_u32_e32 v2, s60, v2                                  // 000000004994: 6804043C
	buffer_load_dword v178, v1, s[12:15], 0 idxen              // 000000004998: E0502000 8003B201
	buffer_load_dword v179, v2, s[12:15], 0 idxen              // 0000000049A0: E0502000 8003B302
	buffer_load_dword v180, v1, s[12:15], 0 idxen offset:128   // 0000000049A8: E0502080 8003B401
	buffer_load_dword v181, v2, s[12:15], 0 idxen offset:128   // 0000000049B0: E0502080 8003B502
	v_mov_b32_e32 v182, 0                                      // 0000000049B8: 7F6C0280
	s_mov_b64 exec, s[88:89]                                   // 0000000049BC: BEFE0158
	buffer_load_dword v182, v1, s[12:15], 0 idxen offset:256   // 0000000049C0: E0502100 8003B601
	s_mov_b32 exec_lo, -1                                      // 0000000049C8: BEFE00C1
	s_mov_b32 exec_hi, -1                                      // 0000000049CC: BEFF00C1
	v_mov_b32_e32 v183, 0                                      // 0000000049D0: 7F6E0280
	s_mov_b64 exec, s[88:89]                                   // 0000000049D4: BEFE0158
	buffer_load_dword v183, v2, s[12:15], 0 idxen offset:256   // 0000000049D8: E0502100 8003B702
	s_mov_b32 exec_lo, -1                                      // 0000000049E0: BEFE00C1
	s_mov_b32 exec_hi, -1                                      // 0000000049E4: BEFF00C1
	s_mul_i32 s60, 4, s6                                       // 0000000049E8: 923C0684
	v_add_u32_e32 v1, s60, v1                                  // 0000000049EC: 6802023C
	v_add_u32_e32 v2, s60, v2                                  // 0000000049F0: 6804043C
	s_waitcnt vmcnt(0) lgkmcnt(0)                              // 0000000049F4: BF8C0070
	s_barrier                                                  // 0000000049F8: BF8A0000
	v_perm_b32 v184, v161, v160, s63                           // 0000000049FC: D1ED00B8 00FF41A1
	v_perm_b32 v185, v161, v160, s64                           // 000000004A04: D1ED00B9 010341A1
	v_perm_b32 v186, v163, v162, s63                           // 000000004A0C: D1ED00BA 00FF45A3
	v_perm_b32 v187, v163, v162, s64                           // 000000004A14: D1ED00BB 010345A3
	v_perm_b32 v188, v165, v164, s63                           // 000000004A1C: D1ED00BC 00FF49A5
	v_perm_b32 v189, v165, v164, s64                           // 000000004A24: D1ED00BD 010349A5
	v_perm_b32 v190, v167, v166, s63                           // 000000004A2C: D1ED00BE 00FF4DA7
	v_perm_b32 v191, v167, v166, s64                           // 000000004A34: D1ED00BF 01034DA7
	v_perm_b32 v192, v169, v168, s63                           // 000000004A3C: D1ED00C0 00FF51A9
	v_perm_b32 v193, v169, v168, s64                           // 000000004A44: D1ED00C1 010351A9
	v_perm_b32 v194, v171, v170, s63                           // 000000004A4C: D1ED00C2 00FF55AB
	v_perm_b32 v195, v171, v170, s64                           // 000000004A54: D1ED00C3 010355AB
	v_perm_b32 v196, v173, v172, s63                           // 000000004A5C: D1ED00C4 00FF59AD
	v_perm_b32 v197, v173, v172, s64                           // 000000004A64: D1ED00C5 010359AD
	v_perm_b32 v198, v175, v174, s63                           // 000000004A6C: D1ED00C6 00FF5DAF
	v_perm_b32 v199, v175, v174, s64                           // 000000004A74: D1ED00C7 01035DAF
	v_perm_b32 v200, v177, v176, s63                           // 000000004A7C: D1ED00C8 00FF61B1
	v_perm_b32 v201, v177, v176, s64                           // 000000004A84: D1ED00C9 010361B1
	v_perm_b32 v202, v179, v178, s63                           // 000000004A8C: D1ED00CA 00FF65B3
	v_perm_b32 v203, v179, v178, s64                           // 000000004A94: D1ED00CB 010365B3
	v_perm_b32 v204, v181, v180, s63                           // 000000004A9C: D1ED00CC 00FF69B5
	v_perm_b32 v205, v181, v180, s64                           // 000000004AA4: D1ED00CD 010369B5
	v_perm_b32 v206, v183, v182, s63                           // 000000004AAC: D1ED00CE 00FF6DB7
	v_perm_b32 v207, v183, v182, s64                           // 000000004AB4: D1ED00CF 01036DB7
	ds_write_b32 v26, v184 offset:26112                        // 000000004ABC: D81A6600 0000B81A
	ds_write_b32 v26, v185 offset:26120                        // 000000004AC4: D81A6608 0000B91A
	ds_write_b32 v26, v186 offset:28192                        // 000000004ACC: D81A6E20 0000BA1A
	ds_write_b32 v26, v187 offset:28200                        // 000000004AD4: D81A6E28 0000BB1A
	ds_write_b32 v26, v188 offset:30272                        // 000000004ADC: D81A7640 0000BC1A
	ds_write_b32 v26, v189 offset:30280                        // 000000004AE4: D81A7648 0000BD1A
	ds_write_b32 v26, v190 offset:32352                        // 000000004AEC: D81A7E60 0000BE1A
	ds_write_b32 v26, v191 offset:32360                        // 000000004AF4: D81A7E68 0000BF1A
	ds_write_b32 v26, v192 offset:34432                        // 000000004AFC: D81A8680 0000C01A
	ds_write_b32 v26, v193 offset:34440                        // 000000004B04: D81A8688 0000C11A
	ds_write_b32 v26, v194 offset:36512                        // 000000004B0C: D81A8EA0 0000C21A
	ds_write_b32 v26, v195 offset:36520                        // 000000004B14: D81A8EA8 0000C31A
	ds_write_b32 v26, v196 offset:38592                        // 000000004B1C: D81A96C0 0000C41A
	ds_write_b32 v26, v197 offset:38600                        // 000000004B24: D81A96C8 0000C51A
	ds_write_b32 v26, v198 offset:40672                        // 000000004B2C: D81A9EE0 0000C61A
	ds_write_b32 v26, v199 offset:40680                        // 000000004B34: D81A9EE8 0000C71A
	ds_write_b32 v26, v200 offset:42752                        // 000000004B3C: D81AA700 0000C81A
	ds_write_b32 v26, v201 offset:42760                        // 000000004B44: D81AA708 0000C91A
	ds_write_b32 v26, v202 offset:44832                        // 000000004B4C: D81AAF20 0000CA1A
	ds_write_b32 v26, v203 offset:44840                        // 000000004B54: D81AAF28 0000CB1A
	ds_write_b32 v26, v204 offset:46912                        // 000000004B5C: D81AB740 0000CC1A
	ds_write_b32 v26, v205 offset:46920                        // 000000004B64: D81AB748 0000CD1A
	ds_write_b32 v26, v206 offset:48992                        // 000000004B6C: D81ABF60 0000CE1A
	ds_write_b32 v26, v207 offset:49000                        // 000000004B74: D81ABF68 0000CF1A
	ds_write_b32 v11, v160                                     // 000000004B7C: D81A0000 0000A00B
	ds_write_b32 v11, v161 offset:1056                         // 000000004B84: D81A0420 0000A10B
	ds_write_b32 v11, v162 offset:2176                         // 000000004B8C: D81A0880 0000A20B
	ds_write_b32 v11, v163 offset:3232                         // 000000004B94: D81A0CA0 0000A30B
	ds_write_b32 v11, v164 offset:4352                         // 000000004B9C: D81A1100 0000A40B
	ds_write_b32 v11, v165 offset:5408                         // 000000004BA4: D81A1520 0000A50B
	ds_write_b32 v11, v166 offset:6528                         // 000000004BAC: D81A1980 0000A60B
	ds_write_b32 v11, v167 offset:7584                         // 000000004BB4: D81A1DA0 0000A70B
	ds_write_b32 v11, v168 offset:8704                         // 000000004BBC: D81A2200 0000A80B
	ds_write_b32 v11, v169 offset:9760                         // 000000004BC4: D81A2620 0000A90B
	ds_write_b32 v11, v170 offset:10880                        // 000000004BCC: D81A2A80 0000AA0B
	ds_write_b32 v11, v171 offset:11936                        // 000000004BD4: D81A2EA0 0000AB0B
	ds_write_b32 v11, v172 offset:13056                        // 000000004BDC: D81A3300 0000AC0B
	ds_write_b32 v11, v173 offset:14112                        // 000000004BE4: D81A3720 0000AD0B
	ds_write_b32 v11, v174 offset:15232                        // 000000004BEC: D81A3B80 0000AE0B
	ds_write_b32 v11, v175 offset:16288                        // 000000004BF4: D81A3FA0 0000AF0B
	ds_write_b32 v11, v176 offset:17408                        // 000000004BFC: D81A4400 0000B00B
	ds_write_b32 v11, v177 offset:18464                        // 000000004C04: D81A4820 0000B10B
	ds_write_b32 v11, v178 offset:19584                        // 000000004C0C: D81A4C80 0000B20B
	ds_write_b32 v11, v179 offset:20640                        // 000000004C14: D81A50A0 0000B30B
	ds_write_b32 v11, v180 offset:21760                        // 000000004C1C: D81A5500 0000B40B
	ds_write_b32 v11, v181 offset:22816                        // 000000004C24: D81A5920 0000B50B
	ds_write_b32 v11, v182 offset:23936                        // 000000004C2C: D81A5D80 0000B60B
	ds_write_b32 v11, v183 offset:24992                        // 000000004C34: D81A61A0 0000B70B
	s_waitcnt lgkmcnt(0)                                       // 000000004C3C: BF8CC07F
	s_barrier                                                  // 000000004C40: BF8A0000
	buffer_load_dword v160, v208, s[16:19], 0 idxen            // 000000004C44: E0502000 8004A0D0
	buffer_load_dword v161, v209, s[16:19], 0 idxen            // 000000004C4C: E0502000 8004A1D1
	buffer_load_dword v162, v208, s[16:19], 0 idxen offset:128 // 000000004C54: E0502080 8004A2D0
	buffer_load_dword v163, v209, s[16:19], 0 idxen offset:128 // 000000004C5C: E0502080 8004A3D1
	v_mov_b32_e32 v164, 0                                      // 000000004C64: 7F480280
	s_mov_b64 exec, s[88:89]                                   // 000000004C68: BEFE0158
	buffer_load_dword v164, v208, s[16:19], 0 idxen offset:256 // 000000004C6C: E0502100 8004A4D0
	s_mov_b32 exec_lo, -1                                      // 000000004C74: BEFE00C1
	s_mov_b32 exec_hi, -1                                      // 000000004C78: BEFF00C1
	v_mov_b32_e32 v165, 0                                      // 000000004C7C: 7F4A0280
	s_mov_b64 exec, s[88:89]                                   // 000000004C80: BEFE0158
	buffer_load_dword v165, v209, s[16:19], 0 idxen offset:256 // 000000004C84: E0502100 8004A5D1
	s_mov_b32 exec_lo, -1                                      // 000000004C8C: BEFE00C1
	s_mov_b32 exec_hi, -1                                      // 000000004C90: BEFF00C1
	s_mul_i32 s60, 4, s7                                       // 000000004C94: 923C0784
	v_add_u32_e32 v208, s60, v208                              // 000000004C98: 69A1A03C
	v_add_u32_e32 v209, s60, v209                              // 000000004C9C: 69A3A23C
	buffer_load_dword v166, v208, s[16:19], 0 idxen            // 000000004CA0: E0502000 8004A6D0
	buffer_load_dword v167, v209, s[16:19], 0 idxen            // 000000004CA8: E0502000 8004A7D1
	buffer_load_dword v168, v208, s[16:19], 0 idxen offset:128 // 000000004CB0: E0502080 8004A8D0
	buffer_load_dword v169, v209, s[16:19], 0 idxen offset:128 // 000000004CB8: E0502080 8004A9D1
	v_mov_b32_e32 v170, 0                                      // 000000004CC0: 7F540280
	s_mov_b64 exec, s[88:89]                                   // 000000004CC4: BEFE0158
	buffer_load_dword v170, v208, s[16:19], 0 idxen offset:256 // 000000004CC8: E0502100 8004AAD0
	s_mov_b32 exec_lo, -1                                      // 000000004CD0: BEFE00C1
	s_mov_b32 exec_hi, -1                                      // 000000004CD4: BEFF00C1
	v_mov_b32_e32 v171, 0                                      // 000000004CD8: 7F560280
	s_mov_b64 exec, s[88:89]                                   // 000000004CDC: BEFE0158
	buffer_load_dword v171, v209, s[16:19], 0 idxen offset:256 // 000000004CE0: E0502100 8004ABD1
	s_mov_b32 exec_lo, -1                                      // 000000004CE8: BEFE00C1
	s_mov_b32 exec_hi, -1                                      // 000000004CEC: BEFF00C1
	s_mul_i32 s60, 4, s7                                       // 000000004CF0: 923C0784
	v_add_u32_e32 v208, s60, v208                              // 000000004CF4: 69A1A03C
	v_add_u32_e32 v209, s60, v209                              // 000000004CF8: 69A3A23C
	buffer_load_dword v172, v208, s[16:19], 0 idxen            // 000000004CFC: E0502000 8004ACD0
	buffer_load_dword v173, v209, s[16:19], 0 idxen            // 000000004D04: E0502000 8004ADD1
	buffer_load_dword v174, v208, s[16:19], 0 idxen offset:128 // 000000004D0C: E0502080 8004AED0
	buffer_load_dword v175, v209, s[16:19], 0 idxen offset:128 // 000000004D14: E0502080 8004AFD1
	v_mov_b32_e32 v176, 0                                      // 000000004D1C: 7F600280
	s_mov_b64 exec, s[88:89]                                   // 000000004D20: BEFE0158
	buffer_load_dword v176, v208, s[16:19], 0 idxen offset:256 // 000000004D24: E0502100 8004B0D0
	s_mov_b32 exec_lo, -1                                      // 000000004D2C: BEFE00C1
	s_mov_b32 exec_hi, -1                                      // 000000004D30: BEFF00C1
	v_mov_b32_e32 v177, 0                                      // 000000004D34: 7F620280
	s_mov_b64 exec, s[88:89]                                   // 000000004D38: BEFE0158
	buffer_load_dword v177, v209, s[16:19], 0 idxen offset:256 // 000000004D3C: E0502100 8004B1D1
	s_mov_b32 exec_lo, -1                                      // 000000004D44: BEFE00C1
	s_mov_b32 exec_hi, -1                                      // 000000004D48: BEFF00C1
	s_mul_i32 s60, 4, s7                                       // 000000004D4C: 923C0784
	v_add_u32_e32 v208, s60, v208                              // 000000004D50: 69A1A03C
	v_add_u32_e32 v209, s60, v209                              // 000000004D54: 69A3A23C
	buffer_load_dword v178, v208, s[16:19], 0 idxen            // 000000004D58: E0502000 8004B2D0
	buffer_load_dword v179, v209, s[16:19], 0 idxen            // 000000004D60: E0502000 8004B3D1
	buffer_load_dword v180, v208, s[16:19], 0 idxen offset:128 // 000000004D68: E0502080 8004B4D0
	buffer_load_dword v181, v209, s[16:19], 0 idxen offset:128 // 000000004D70: E0502080 8004B5D1
	v_mov_b32_e32 v182, 0                                      // 000000004D78: 7F6C0280
	s_mov_b64 exec, s[88:89]                                   // 000000004D7C: BEFE0158
	buffer_load_dword v182, v208, s[16:19], 0 idxen offset:256 // 000000004D80: E0502100 8004B6D0
	s_mov_b32 exec_lo, -1                                      // 000000004D88: BEFE00C1
	s_mov_b32 exec_hi, -1                                      // 000000004D8C: BEFF00C1
	v_mov_b32_e32 v183, 0                                      // 000000004D90: 7F6E0280
	s_mov_b64 exec, s[88:89]                                   // 000000004D94: BEFE0158
	buffer_load_dword v183, v209, s[16:19], 0 idxen offset:256 // 000000004D98: E0502100 8004B7D1
	s_mov_b32 exec_lo, -1                                      // 000000004DA0: BEFE00C1
	s_mov_b32 exec_hi, -1                                      // 000000004DA4: BEFF00C1
	s_mul_i32 s60, 4, s7                                       // 000000004DA8: 923C0784
	v_add_u32_e32 v208, s60, v208                              // 000000004DAC: 69A1A03C
	v_add_u32_e32 v209, s60, v209                              // 000000004DB0: 69A3A23C
	ds_read_b64 a[24:25], v23 offset:26112                     // 000000004DB4: DAEC6600 18000017
	ds_read_b64 a[26:27], v23 offset:26632                     // 000000004DBC: DAEC6808 1A000017
	ds_read_b64 a[28:29], v23 offset:27152                     // 000000004DC4: DAEC6A10 1C000017
	ds_read_b64 a[30:31], v23 offset:26368                     // 000000004DCC: DAEC6700 1E000017
	ds_read_b64 a[32:33], v23 offset:26888                     // 000000004DD4: DAEC6908 20000017
	ds_read_b64 a[34:35], v23 offset:27408                     // 000000004DDC: DAEC6B10 22000017
	ds_read_b64 a[36:37], v23 offset:38592                     // 000000004DE4: DAEC96C0 24000017
	ds_read_b64 a[38:39], v23 offset:39112                     // 000000004DEC: DAEC98C8 26000017
	ds_read_b64 a[40:41], v23 offset:39632                     // 000000004DF4: DAEC9AD0 28000017
	ds_read_b64 a[42:43], v23 offset:38848                     // 000000004DFC: DAEC97C0 2A000017
	ds_read_b64 a[44:45], v23 offset:39368                     // 000000004E04: DAEC99C8 2C000017
	ds_read_b64 a[46:47], v23 offset:39888                     // 000000004E0C: DAEC9BD0 2E000017
	ds_read_b128 a[0:3], v22                                   // 000000004E14: DBFE0000 00000016
	ds_read_b128 a[4:7], v22 offset:512                        // 000000004E1C: DBFE0200 04000016
	ds_read_b128 a[8:11], v22 offset:2176                      // 000000004E24: DBFE0880 08000016
	ds_read_b128 a[12:15], v22 offset:2688                     // 000000004E2C: DBFE0A80 0C000016
	ds_read_b128 a[16:19], v22 offset:4352                     // 000000004E34: DBFE1100 10000016
	ds_read_b128 a[20:23], v22 offset:4864                     // 000000004E3C: DBFE1300 14000016
	s_waitcnt vmcnt(0) lgkmcnt(0)                              // 000000004E44: BF8C0070
	s_barrier                                                  // 000000004E48: BF8A0000
	ds_write_b32 v11, v160                                     // 000000004E4C: D81A0000 0000A00B
	ds_write_b32 v11, v161 offset:1056                         // 000000004E54: D81A0420 0000A10B
	ds_write_b32 v11, v162 offset:2176                         // 000000004E5C: D81A0880 0000A20B
	ds_write_b32 v11, v163 offset:3232                         // 000000004E64: D81A0CA0 0000A30B
	ds_write_b32 v11, v164 offset:4352                         // 000000004E6C: D81A1100 0000A40B
	ds_write_b32 v11, v165 offset:5408                         // 000000004E74: D81A1520 0000A50B
	ds_write_b32 v11, v166 offset:6528                         // 000000004E7C: D81A1980 0000A60B
	ds_write_b32 v11, v167 offset:7584                         // 000000004E84: D81A1DA0 0000A70B
	ds_write_b32 v11, v168 offset:8704                         // 000000004E8C: D81A2200 0000A80B
	ds_write_b32 v11, v169 offset:9760                         // 000000004E94: D81A2620 0000A90B
	ds_write_b32 v11, v170 offset:10880                        // 000000004E9C: D81A2A80 0000AA0B
	ds_write_b32 v11, v171 offset:11936                        // 000000004EA4: D81A2EA0 0000AB0B
	ds_write_b32 v11, v172 offset:13056                        // 000000004EAC: D81A3300 0000AC0B
	ds_write_b32 v11, v173 offset:14112                        // 000000004EB4: D81A3720 0000AD0B
	ds_write_b32 v11, v174 offset:15232                        // 000000004EBC: D81A3B80 0000AE0B
	ds_write_b32 v11, v175 offset:16288                        // 000000004EC4: D81A3FA0 0000AF0B
	ds_write_b32 v11, v176 offset:17408                        // 000000004ECC: D81A4400 0000B00B
	ds_write_b32 v11, v177 offset:18464                        // 000000004ED4: D81A4820 0000B10B
	ds_write_b32 v11, v178 offset:19584                        // 000000004EDC: D81A4C80 0000B20B
	ds_write_b32 v11, v179 offset:20640                        // 000000004EE4: D81A50A0 0000B30B
	ds_write_b32 v11, v180 offset:21760                        // 000000004EEC: D81A5500 0000B40B
	ds_write_b32 v11, v181 offset:22816                        // 000000004EF4: D81A5920 0000B50B
	ds_write_b32 v11, v182 offset:23936                        // 000000004EFC: D81A5D80 0000B60B
	ds_write_b32 v11, v183 offset:24992                        // 000000004F04: D81A61A0 0000B70B
	s_mov_b32 s71, s5                                          // 000000004F0C: BEC70005
	v_lshrrev_b32_e32 v28, 4, v0                               // 000000004F10: 20380084
	v_and_b32_e32 v29, 1, v28                                  // 000000004F14: 263A3881
	v_lshlrev_b32_e32 v29, 1, v29                              // 000000004F18: 243A3A81
	v_mul_i32_i24_e32 v29, s71, v29                            // 000000004F1C: 0C3A3A47
	v_and_b32_e32 v30, 2, v28                                  // 000000004F20: 263C3882
	v_lshlrev_b32_e32 v30, 5, v30                              // 000000004F24: 243C3C85
	v_add_u32_e32 v29, v30, v29                                // 000000004F28: 683A3B1E
	v_and_b32_e32 v28, 15, v0                                  // 000000004F2C: 2638008F
	v_lshlrev_b32_e32 v28, 2, v28                              // 000000004F30: 24383882
	v_add_u32_e32 v1, v28, v29                                 // 000000004F34: 68023B1C
	s_mul_i32 s60, s46, s71                                    // 000000004F38: 923C472E
	s_mul_i32 s60, s60, 4                                      // 000000004F3C: 923C843C
	v_add_u32_e32 v1, s60, v1                                  // 000000004F40: 6802023C
	v_add_u32_e32 v2, s71, v1                                  // 000000004F44: 68040247
	s_mov_b32 s71, s51                                         // 000000004F48: BEC70033
	v_lshrrev_b32_e32 v28, 4, v0                               // 000000004F4C: 20380084
	v_and_b32_e32 v29, 1, v28                                  // 000000004F50: 263A3881
	v_lshlrev_b32_e32 v29, 1, v29                              // 000000004F54: 243A3A81
	v_mul_i32_i24_e32 v29, s71, v29                            // 000000004F58: 0C3A3A47
	v_and_b32_e32 v30, 2, v28                                  // 000000004F5C: 263C3882
	v_lshlrev_b32_e32 v30, 5, v30                              // 000000004F60: 243C3C85
	v_add_u32_e32 v29, v30, v29                                // 000000004F64: 683A3B1E
	v_and_b32_e32 v28, 15, v0                                  // 000000004F68: 2638008F
	v_lshlrev_b32_e32 v28, 2, v28                              // 000000004F6C: 24383882
	v_add_u32_e32 v208, v28, v29                               // 000000004F70: 69A03B1C
	s_mul_i32 s60, s46, s71                                    // 000000004F74: 923C472E
	s_mul_i32 s60, s60, 4                                      // 000000004F78: 923C843C
	v_add_u32_e32 v208, s60, v208                              // 000000004F7C: 69A1A03C
	v_add_u32_e32 v209, s71, v208                              // 000000004F80: 69A3A047
	v_lshrrev_b32_e32 v1, 2, v1                                // 000000004F84: 20020282
	v_lshrrev_b32_e32 v2, 2, v2                                // 000000004F88: 20040482
	v_lshrrev_b32_e32 v208, 2, v208                            // 000000004F8C: 21A1A082
	v_lshrrev_b32_e32 v209, 2, v209                            // 000000004F90: 21A3A282
	buffer_load_dword v32, v1, s[8:11], 0 idxen                // 000000004F94: E0502000 80022001
	buffer_load_dword v33, v2, s[8:11], 0 idxen                // 000000004F9C: E0502000 80022102
	buffer_load_dword v34, v1, s[8:11], 0 idxen offset:128     // 000000004FA4: E0502080 80022201
	buffer_load_dword v35, v2, s[8:11], 0 idxen offset:128     // 000000004FAC: E0502080 80022302
	v_mov_b32_e32 v36, 0                                       // 000000004FB4: 7E480280
	s_mov_b64 exec, s[88:89]                                   // 000000004FB8: BEFE0158
	buffer_load_dword v36, v1, s[8:11], 0 idxen offset:256     // 000000004FBC: E0502100 80022401
	s_mov_b32 exec_lo, -1                                      // 000000004FC4: BEFE00C1
	s_mov_b32 exec_hi, -1                                      // 000000004FC8: BEFF00C1
	v_mov_b32_e32 v37, 0                                       // 000000004FCC: 7E4A0280
	s_mov_b64 exec, s[88:89]                                   // 000000004FD0: BEFE0158
	buffer_load_dword v37, v2, s[8:11], 0 idxen offset:256     // 000000004FD4: E0502100 80022502
	s_mov_b32 exec_lo, -1                                      // 000000004FDC: BEFE00C1
	s_mov_b32 exec_hi, -1                                      // 000000004FE0: BEFF00C1
	buffer_load_dword v44, v208, s[20:23], 0 idxen             // 000000004FE4: E0502000 80052CD0
	buffer_load_dword v45, v209, s[20:23], 0 idxen             // 000000004FEC: E0502000 80052DD1
	buffer_load_dword v46, v208, s[20:23], 0 idxen offset:128  // 000000004FF4: E0502080 80052ED0
	buffer_load_dword v47, v209, s[20:23], 0 idxen offset:128  // 000000004FFC: E0502080 80052FD1
	v_mov_b32_e32 v48, 0                                       // 000000005004: 7E600280
	s_mov_b64 exec, s[88:89]                                   // 000000005008: BEFE0158
	buffer_load_dword v48, v208, s[20:23], 0 idxen offset:256  // 00000000500C: E0502100 800530D0
	s_mov_b32 exec_lo, -1                                      // 000000005014: BEFE00C1
	s_mov_b32 exec_hi, -1                                      // 000000005018: BEFF00C1
	v_mov_b32_e32 v49, 0                                       // 00000000501C: 7E620280
	s_mov_b64 exec, s[88:89]                                   // 000000005020: BEFE0158
	buffer_load_dword v49, v209, s[20:23], 0 idxen offset:256  // 000000005024: E0502100 800531D1
	s_mov_b32 exec_lo, -1                                      // 00000000502C: BEFE00C1
	s_mov_b32 exec_hi, -1                                      // 000000005030: BEFF00C1
	s_waitcnt lgkmcnt(0)                                       // 000000005034: BF8CC07F
	s_barrier                                                  // 000000005038: BF8A0000
	ds_read_b128 a[48:51], v22                                 // 00000000503C: DBFE0000 30000016
	ds_read_b128 a[52:55], v22 offset:512                      // 000000005044: DBFE0200 34000016
	ds_read_b128 a[56:59], v22 offset:2176                     // 00000000504C: DBFE0880 38000016
	ds_read_b128 a[60:63], v22 offset:2688                     // 000000005054: DBFE0A80 3C000016
	ds_read_b128 a[64:67], v22 offset:4352                     // 00000000505C: DBFE1100 40000016
	ds_read_b128 a[68:71], v22 offset:4864                     // 000000005064: DBFE1300 44000016
	v_add_u32_e32 v1, s68, v1                                  // 00000000506C: 68020244
	v_add_u32_e32 v2, s68, v2                                  // 000000005070: 68040444
	v_add_u32_e32 v208, s97, v208                              // 000000005074: 69A1A061
	v_add_u32_e32 v209, s97, v209                              // 000000005078: 69A3A261
	buffer_load_dword v38, v1, s[8:11], 0 idxen                // 00000000507C: E0502000 80022601
	buffer_load_dword v39, v2, s[8:11], 0 idxen                // 000000005084: E0502000 80022702
	buffer_load_dword v40, v1, s[8:11], 0 idxen offset:128     // 00000000508C: E0502080 80022801
	buffer_load_dword v41, v2, s[8:11], 0 idxen offset:128     // 000000005094: E0502080 80022902
	v_mov_b32_e32 v42, 0                                       // 00000000509C: 7E540280
	s_mov_b64 exec, s[88:89]                                   // 0000000050A0: BEFE0158
	buffer_load_dword v42, v1, s[8:11], 0 idxen offset:256     // 0000000050A4: E0502100 80022A01
	s_mov_b32 exec_lo, -1                                      // 0000000050AC: BEFE00C1
	s_mov_b32 exec_hi, -1                                      // 0000000050B0: BEFF00C1
	v_mov_b32_e32 v43, 0                                       // 0000000050B4: 7E560280
	s_mov_b64 exec, s[88:89]                                   // 0000000050B8: BEFE0158
	buffer_load_dword v43, v2, s[8:11], 0 idxen offset:256     // 0000000050BC: E0502100 80022B02
	s_mov_b32 exec_lo, -1                                      // 0000000050C4: BEFE00C1
	s_mov_b32 exec_hi, -1                                      // 0000000050C8: BEFF00C1
	buffer_load_dword v50, v208, s[20:23], 0 idxen             // 0000000050CC: E0502000 800532D0
	buffer_load_dword v51, v209, s[20:23], 0 idxen             // 0000000050D4: E0502000 800533D1
	buffer_load_dword v52, v208, s[20:23], 0 idxen offset:128  // 0000000050DC: E0502080 800534D0
	buffer_load_dword v53, v209, s[20:23], 0 idxen offset:128  // 0000000050E4: E0502080 800535D1
	v_mov_b32_e32 v54, 0                                       // 0000000050EC: 7E6C0280
	s_mov_b64 exec, s[88:89]                                   // 0000000050F0: BEFE0158
	buffer_load_dword v54, v208, s[20:23], 0 idxen offset:256  // 0000000050F4: E0502100 800536D0
	s_mov_b32 exec_lo, -1                                      // 0000000050FC: BEFE00C1
	s_mov_b32 exec_hi, -1                                      // 000000005100: BEFF00C1
	v_mov_b32_e32 v55, 0                                       // 000000005104: 7E6E0280
	s_mov_b64 exec, s[88:89]                                   // 000000005108: BEFE0158
	buffer_load_dword v55, v209, s[20:23], 0 idxen offset:256  // 00000000510C: E0502100 800537D1
	s_mov_b32 exec_lo, -1                                      // 000000005114: BEFE00C1
	s_mov_b32 exec_hi, -1                                      // 000000005118: BEFF00C1
	v_add_u32_e32 v1, s68, v1                                  // 00000000511C: 68020244
	v_add_u32_e32 v2, s68, v2                                  // 000000005120: 68040444
	v_add_u32_e32 v208, s97, v208                              // 000000005124: 69A1A061
	v_add_u32_e32 v209, s97, v209                              // 000000005128: 69A3A261
	s_waitcnt vmcnt(12) lgkmcnt(0)                             // 00000000512C: BF8C007C
	s_barrier                                                  // 000000005130: BF8A0000
	buffer_load_dword v9, s[24:27], 0 idxen lds                // 000000005134: E0512000 80060009
	s_mov_b32 m0, s79                                          // 00000000513C: BEFC004F
	v_add_u32_e32 v9, s69, v9                                  // 000000005140: 68121245
	v_perm_b32 v68, v33, v32, s63                              // 000000005144: D1ED0044 00FE4121
	v_perm_b32 v69, v33, v32, s64                              // 00000000514C: D1ED0045 01024121
	v_perm_b32 v70, v35, v34, s63                              // 000000005154: D1ED0046 00FE4523
	v_perm_b32 v71, v35, v34, s64                              // 00000000515C: D1ED0047 01024523
	v_perm_b32 v72, v37, v36, s63                              // 000000005164: D1ED0048 00FE4925
	v_perm_b32 v73, v37, v36, s64                              // 00000000516C: D1ED0049 01024925
	ds_write_b32 v13, v68 offset:6528                          // 000000005174: D81A1980 0000440D
	ds_write_b32 v13, v69 offset:7584                          // 00000000517C: D81A1DA0 0000450D
	ds_write_b32 v13, v70 offset:8704                          // 000000005184: D81A2200 0000460D
	ds_write_b32 v13, v71 offset:9760                          // 00000000518C: D81A2620 0000470D
	ds_write_b32 v13, v72 offset:10880                         // 000000005194: D81A2A80 0000480D
	ds_write_b32 v13, v73 offset:11936                         // 00000000519C: D81A2EA0 0000490D
	ds_write_b32 v11, v32                                      // 0000000051A4: D81A0000 0000200B
	ds_write_b32 v11, v33 offset:1056                          // 0000000051AC: D81A0420 0000210B
	ds_write_b32 v11, v34 offset:2176                          // 0000000051B4: D81A0880 0000220B
	ds_write_b32 v11, v35 offset:3232                          // 0000000051BC: D81A0CA0 0000230B
	ds_write_b32 v11, v36 offset:4352                          // 0000000051C4: D81A1100 0000240B
	ds_write_b32 v11, v37 offset:5408                          // 0000000051CC: D81A1520 0000250B
	buffer_load_dword v9, s[24:27], 0 idxen lds                // 0000000051D4: E0512000 80060009
	s_mov_b32 m0, s78                                          // 0000000051DC: BEFC004E
	v_add_u32_e32 v9, s69, v9                                  // 0000000051E0: 68121245
	v_perm_b32 v74, v45, v44, s63                              // 0000000051E4: D1ED004A 00FE592D
	v_perm_b32 v75, v45, v44, s64                              // 0000000051EC: D1ED004B 0102592D
	v_perm_b32 v76, v47, v46, s63                              // 0000000051F4: D1ED004C 00FE5D2F
	v_perm_b32 v77, v47, v46, s64                              // 0000000051FC: D1ED004D 01025D2F
	v_perm_b32 v78, v49, v48, s63                              // 000000005204: D1ED004E 00FE6131
	v_perm_b32 v79, v49, v48, s64                              // 00000000520C: D1ED004F 01026131
	ds_write_b32 v13, v74 offset:19584                         // 000000005214: D81A4C80 00004A0D
	ds_write_b32 v13, v75 offset:20640                         // 00000000521C: D81A50A0 00004B0D
	ds_write_b32 v13, v76 offset:21760                         // 000000005224: D81A5500 00004C0D
	ds_write_b32 v13, v77 offset:22816                         // 00000000522C: D81A5920 00004D0D
	ds_write_b32 v13, v78 offset:23936                         // 000000005234: D81A5D80 00004E0D
	ds_write_b32 v13, v79 offset:24992                         // 00000000523C: D81A61A0 00004F0D
	ds_write_b32 v11, v44 offset:13056                         // 000000005244: D81A3300 00002C0B
	ds_write_b32 v11, v45 offset:14112                         // 00000000524C: D81A3720 00002D0B
	ds_write_b32 v11, v46 offset:15232                         // 000000005254: D81A3B80 00002E0B
	ds_write_b32 v11, v47 offset:16288                         // 00000000525C: D81A3FA0 00002F0B
	ds_write_b32 v11, v48 offset:17408                         // 000000005264: D81A4400 0000300B
	ds_write_b32 v11, v49 offset:18464                         // 00000000526C: D81A4820 0000310B
	s_waitcnt vmcnt(1) lgkmcnt(0)                              // 000000005274: BF8C0071
	s_barrier                                                  // 000000005278: BF8A0000
	ds_read_b128 a[72:75], v10                                 // 00000000527C: DBFE0000 4800000A
	ds_read_b128 a[76:79], v10 offset:512                      // 000000005284: DBFE0200 4C00000A
	ds_read_b128 a[80:83], v10 offset:2176                     // 00000000528C: DBFE0880 5000000A
	ds_read_b128 a[84:87], v10 offset:2688                     // 000000005294: DBFE0A80 5400000A
	ds_read_b128 a[88:91], v10 offset:4352                     // 00000000529C: DBFE1100 5800000A
	ds_read_b128 a[92:95], v10 offset:4864                     // 0000000052A4: DBFE1300 5C00000A
	ds_read_b128 v[80:83], v10 offset:13056                    // 0000000052AC: D9FE3300 5000000A
	ds_read_b128 v[84:87], v10 offset:13568                    // 0000000052B4: D9FE3500 5400000A
	ds_read_b128 v[88:91], v10 offset:15232                    // 0000000052BC: D9FE3B80 5800000A
	ds_read_b128 v[92:95], v10 offset:15744                    // 0000000052C4: D9FE3D80 5C00000A
	ds_read_b128 v[96:99], v10 offset:17408                    // 0000000052CC: D9FE4400 6000000A
	ds_read_b128 v[100:103], v10 offset:17920                  // 0000000052D4: D9FE4600 6400000A
	ds_read_b32 v128, v21 offset:40704                         // 0000000052DC: D86C9F00 80000015
	ds_read_b32 v158, v21 offset:40960                         // 0000000052E4: D86CA000 9E000015
	v_accvgpr_write_b32 a96, 0                                 // 0000000052EC: D3D94060 18000080
	v_mov_b32_e32 v160, 0                                      // 0000000052F4: 7F400280
	v_accvgpr_write_b32 a97, 0                                 // 0000000052F8: D3D94061 18000080
	v_mov_b32_e32 v161, 0                                      // 000000005300: 7F420280
	v_accvgpr_write_b32 a98, 0                                 // 000000005304: D3D94062 18000080
	v_mov_b32_e32 v162, 0                                      // 00000000530C: 7F440280
	v_accvgpr_write_b32 a99, 0                                 // 000000005310: D3D94063 18000080
	v_mov_b32_e32 v163, 0                                      // 000000005318: 7F460280
	v_accvgpr_write_b32 a100, 0                                // 00000000531C: D3D94064 18000080
	v_mov_b32_e32 v164, 0                                      // 000000005324: 7F480280
	v_accvgpr_write_b32 a101, 0                                // 000000005328: D3D94065 18000080
	v_mov_b32_e32 v165, 0                                      // 000000005330: 7F4A0280
	v_accvgpr_write_b32 a102, 0                                // 000000005334: D3D94066 18000080
	v_mov_b32_e32 v166, 0                                      // 00000000533C: 7F4C0280
	v_accvgpr_write_b32 a103, 0                                // 000000005340: D3D94067 18000080
	v_mov_b32_e32 v167, 0                                      // 000000005348: 7F4E0280
	v_accvgpr_write_b32 a104, 0                                // 00000000534C: D3D94068 18000080
	v_mov_b32_e32 v168, 0                                      // 000000005354: 7F500280
	v_accvgpr_write_b32 a105, 0                                // 000000005358: D3D94069 18000080
	v_mov_b32_e32 v169, 0                                      // 000000005360: 7F520280
	v_accvgpr_write_b32 a106, 0                                // 000000005364: D3D9406A 18000080
	v_mov_b32_e32 v170, 0                                      // 00000000536C: 7F540280
	v_accvgpr_write_b32 a107, 0                                // 000000005370: D3D9406B 18000080
	v_mov_b32_e32 v171, 0                                      // 000000005378: 7F560280
	v_accvgpr_write_b32 a108, 0                                // 00000000537C: D3D9406C 18000080
	v_mov_b32_e32 v172, 0                                      // 000000005384: 7F580280
	v_accvgpr_write_b32 a109, 0                                // 000000005388: D3D9406D 18000080
	v_mov_b32_e32 v173, 0                                      // 000000005390: 7F5A0280
	v_accvgpr_write_b32 a110, 0                                // 000000005394: D3D9406E 18000080
	v_mov_b32_e32 v174, 0                                      // 00000000539C: 7F5C0280
	v_accvgpr_write_b32 a111, 0                                // 0000000053A0: D3D9406F 18000080
	v_mov_b32_e32 v175, 0                                      // 0000000053A8: 7F5E0280
	v_accvgpr_write_b32 a112, 0                                // 0000000053AC: D3D94070 18000080
	v_mov_b32_e32 v176, 0                                      // 0000000053B4: 7F600280
	v_accvgpr_write_b32 a113, 0                                // 0000000053B8: D3D94071 18000080
	v_mov_b32_e32 v177, 0                                      // 0000000053C0: 7F620280
	v_accvgpr_write_b32 a114, 0                                // 0000000053C4: D3D94072 18000080
	v_mov_b32_e32 v178, 0                                      // 0000000053CC: 7F640280
	v_accvgpr_write_b32 a115, 0                                // 0000000053D0: D3D94073 18000080
	v_mov_b32_e32 v179, 0                                      // 0000000053D8: 7F660280
	v_accvgpr_write_b32 a116, 0                                // 0000000053DC: D3D94074 18000080
	v_mov_b32_e32 v180, 0                                      // 0000000053E4: 7F680280
	v_accvgpr_write_b32 a117, 0                                // 0000000053E8: D3D94075 18000080
	v_mov_b32_e32 v181, 0                                      // 0000000053F0: 7F6A0280
	v_accvgpr_write_b32 a118, 0                                // 0000000053F4: D3D94076 18000080
	v_mov_b32_e32 v182, 0                                      // 0000000053FC: 7F6C0280
	v_accvgpr_write_b32 a119, 0                                // 000000005400: D3D94077 18000080
	v_mov_b32_e32 v183, 0                                      // 000000005408: 7F6E0280
	v_accvgpr_write_b32 a120, 0                                // 00000000540C: D3D94078 18000080
	v_mov_b32_e32 v184, 0                                      // 000000005414: 7F700280
	v_accvgpr_write_b32 a121, 0                                // 000000005418: D3D94079 18000080
	v_mov_b32_e32 v185, 0                                      // 000000005420: 7F720280
	v_accvgpr_write_b32 a122, 0                                // 000000005424: D3D9407A 18000080
	v_mov_b32_e32 v186, 0                                      // 00000000542C: 7F740280
	v_accvgpr_write_b32 a123, 0                                // 000000005430: D3D9407B 18000080
	v_mov_b32_e32 v187, 0                                      // 000000005438: 7F760280
	v_accvgpr_write_b32 a124, 0                                // 00000000543C: D3D9407C 18000080
	v_mov_b32_e32 v188, 0                                      // 000000005444: 7F780280
	v_accvgpr_write_b32 a125, 0                                // 000000005448: D3D9407D 18000080
	v_mov_b32_e32 v189, 0                                      // 000000005450: 7F7A0280
	v_accvgpr_write_b32 a126, 0                                // 000000005454: D3D9407E 18000080
	v_mov_b32_e32 v190, 0                                      // 00000000545C: 7F7C0280
	v_accvgpr_write_b32 a127, 0                                // 000000005460: D3D9407F 18000080
	v_mov_b32_e32 v191, 0                                      // 000000005468: 7F7E0280
	v_accvgpr_write_b32 a128, 0                                // 00000000546C: D3D94080 18000080
	v_mov_b32_e32 v192, 0                                      // 000000005474: 7F800280
	v_accvgpr_write_b32 a129, 0                                // 000000005478: D3D94081 18000080
	v_mov_b32_e32 v193, 0                                      // 000000005480: 7F820280
	v_accvgpr_write_b32 a130, 0                                // 000000005484: D3D94082 18000080
	v_mov_b32_e32 v194, 0                                      // 00000000548C: 7F840280
	v_accvgpr_write_b32 a131, 0                                // 000000005490: D3D94083 18000080
	v_mov_b32_e32 v195, 0                                      // 000000005498: 7F860280
	v_accvgpr_write_b32 a132, 0                                // 00000000549C: D3D94084 18000080
	v_mov_b32_e32 v196, 0                                      // 0000000054A4: 7F880280
	v_accvgpr_write_b32 a133, 0                                // 0000000054A8: D3D94085 18000080
	v_mov_b32_e32 v197, 0                                      // 0000000054B0: 7F8A0280
	v_accvgpr_write_b32 a134, 0                                // 0000000054B4: D3D94086 18000080
	v_mov_b32_e32 v198, 0                                      // 0000000054BC: 7F8C0280
	v_accvgpr_write_b32 a135, 0                                // 0000000054C0: D3D94087 18000080
	v_mov_b32_e32 v199, 0                                      // 0000000054C8: 7F8E0280
	v_accvgpr_write_b32 a136, 0                                // 0000000054CC: D3D94088 18000080
	v_mov_b32_e32 v200, 0                                      // 0000000054D4: 7F900280
	v_accvgpr_write_b32 a137, 0                                // 0000000054D8: D3D94089 18000080
	v_mov_b32_e32 v201, 0                                      // 0000000054E0: 7F920280
	v_accvgpr_write_b32 a138, 0                                // 0000000054E4: D3D9408A 18000080
	v_mov_b32_e32 v202, 0                                      // 0000000054EC: 7F940280
	v_accvgpr_write_b32 a139, 0                                // 0000000054F0: D3D9408B 18000080
	v_mov_b32_e32 v203, 0                                      // 0000000054F8: 7F960280
	v_accvgpr_write_b32 a140, 0                                // 0000000054FC: D3D9408C 18000080
	v_mov_b32_e32 v204, 0                                      // 000000005504: 7F980280
	v_accvgpr_write_b32 a141, 0                                // 000000005508: D3D9408D 18000080
	v_mov_b32_e32 v205, 0                                      // 000000005510: 7F9A0280
	v_accvgpr_write_b32 a142, 0                                // 000000005514: D3D9408E 18000080
	v_mov_b32_e32 v206, 0                                      // 00000000551C: 7F9C0280
	v_accvgpr_write_b32 a143, 0                                // 000000005520: D3D9408F 18000080
	v_mov_b32_e32 v207, 0                                      // 000000005528: 7F9E0280
	v_mov_b32_e32 v144, 0                                      // 00000000552C: 7F200280
	v_mov_b32_e32 v145, 0                                      // 000000005530: 7F220280
	v_mov_b32_e32 v146, 0                                      // 000000005534: 7F240280
	v_mov_b32_e32 v147, 0                                      // 000000005538: 7F260280
	v_mov_b32_e32 v148, 0                                      // 00000000553C: 7F280280
	v_mov_b32_e32 v149, 0                                      // 000000005540: 7F2A0280
	v_mov_b32_e32 v150, 0                                      // 000000005544: 7F2C0280
	v_mov_b32_e32 v151, 0                                      // 000000005548: 7F2E0280
	v_mov_b32_e32 v152, 0                                      // 00000000554C: 7F300280
	v_mov_b32_e32 v153, 0                                      // 000000005550: 7F320280
	v_mov_b32_e32 v154, 0                                      // 000000005554: 7F340280
	v_mov_b32_e32 v155, 0                                      // 000000005558: 7F360280
	v_mov_b32_e32 v132, 0                                      // 00000000555C: 7F080280
	v_mov_b32_e32 v133, 0                                      // 000000005560: 7F0A0280
	v_mov_b32_e32 v134, 0                                      // 000000005564: 7F0C0280
	v_mov_b32_e32 v135, 0                                      // 000000005568: 7F0E0280
	v_mov_b32_e32 v136, 0                                      // 00000000556C: 7F100280
	v_mov_b32_e32 v137, 0                                      // 000000005570: 7F120280
	v_mov_b32_e32 v138, 0                                      // 000000005574: 7F140280
	v_mov_b32_e32 v139, 0                                      // 000000005578: 7F160280
	v_mov_b32_e32 v140, 0                                      // 00000000557C: 7F180280
	v_mov_b32_e32 v141, 0                                      // 000000005580: 7F1A0280
	v_mov_b32_e32 v142, 0                                      // 000000005584: 7F1C0280
	v_mov_b32_e32 v143, 0                                      // 000000005588: 7F1E0280
	s_waitcnt lgkmcnt(0)                                       // 00000000558C: BF8CC07F
	s_barrier                                                  // 000000005590: BF8A0000
	buffer_load_dword v32, v1, s[8:11], 0 idxen                // 000000005594: E0502000 80022001
	buffer_load_dword v33, v2, s[8:11], 0 idxen                // 00000000559C: E0502000 80022102
	buffer_load_dword v34, v1, s[8:11], 0 idxen offset:128     // 0000000055A4: E0502080 80022201
	buffer_load_dword v35, v2, s[8:11], 0 idxen offset:128     // 0000000055AC: E0502080 80022302
	v_mov_b32_e32 v36, 0                                       // 0000000055B4: 7E480280
	s_mov_b64 exec, s[88:89]                                   // 0000000055B8: BEFE0158
	buffer_load_dword v36, v1, s[8:11], 0 idxen offset:256     // 0000000055BC: E0502100 80022401
	s_mov_b32 exec_lo, -1                                      // 0000000055C4: BEFE00C1
	s_mov_b32 exec_hi, -1                                      // 0000000055C8: BEFF00C1
	v_mov_b32_e32 v37, 0                                       // 0000000055CC: 7E4A0280
	s_mov_b64 exec, s[88:89]                                   // 0000000055D0: BEFE0158
	buffer_load_dword v37, v2, s[8:11], 0 idxen offset:256     // 0000000055D4: E0502100 80022502
	s_mov_b32 exec_lo, -1                                      // 0000000055DC: BEFE00C1
	s_mov_b32 exec_hi, -1                                      // 0000000055E0: BEFF00C1
	buffer_load_dword v44, v208, s[20:23], 0 idxen             // 0000000055E4: E0502000 80052CD0
	buffer_load_dword v45, v209, s[20:23], 0 idxen             // 0000000055EC: E0502000 80052DD1
	buffer_load_dword v46, v208, s[20:23], 0 idxen offset:128  // 0000000055F4: E0502080 80052ED0
	buffer_load_dword v47, v209, s[20:23], 0 idxen offset:128  // 0000000055FC: E0502080 80052FD1
	v_mov_b32_e32 v48, 0                                       // 000000005604: 7E600280
	s_mov_b64 exec, s[88:89]                                   // 000000005608: BEFE0158
	buffer_load_dword v48, v208, s[20:23], 0 idxen offset:256  // 00000000560C: E0502100 800530D0
	s_mov_b32 exec_lo, -1                                      // 000000005614: BEFE00C1
	s_mov_b32 exec_hi, -1                                      // 000000005618: BEFF00C1
	v_mov_b32_e32 v49, 0                                       // 00000000561C: 7E620280
	s_mov_b64 exec, s[88:89]                                   // 000000005620: BEFE0158
	buffer_load_dword v49, v209, s[20:23], 0 idxen offset:256  // 000000005624: E0502100 800531D1
	s_mov_b32 exec_lo, -1                                      // 00000000562C: BEFE00C1
	s_mov_b32 exec_hi, -1                                      // 000000005630: BEFF00C1
	buffer_load_dword v9, s[24:27], 0 idxen lds                // 000000005634: E0512000 80060009
	s_mov_b32 m0, s79                                          // 00000000563C: BEFC004F
	v_add_u32_e32 v9, s69, v9                                  // 000000005640: 68121245
	v_add_u32_e32 v1, s68, v1                                  // 000000005644: 68020244
	;; [unrolled: 1-line block ×3, first 2 shown]
	v_add_u32_e32 v208, s97, v208                              // 00000000564C: 69A1A061
	v_add_u32_e32 v209, s97, v209                              // 000000005650: 69A3A261
	v_mul_f32_e32 v128, s48, v128                              // 000000005654: 0B010030
	v_perm_b32 v68, v39, v38, s63                              // 000000005658: D1ED0044 00FE4D27
	v_perm_b32 v69, v39, v38, s64                              // 000000005660: D1ED0045 01024D27
	v_perm_b32 v70, v41, v40, s63                              // 000000005668: D1ED0046 00FE5129
	v_perm_b32 v71, v41, v40, s64                              // 000000005670: D1ED0047 01025129
	v_perm_b32 v72, v43, v42, s63                              // 000000005678: D1ED0048 00FE552B
	v_perm_b32 v73, v43, v42, s64                              // 000000005680: D1ED0049 0102552B
	v_perm_b32 v74, v51, v50, s63                              // 000000005688: D1ED004A 00FE6533
	v_perm_b32 v75, v51, v50, s64                              // 000000005690: D1ED004B 01026533
	v_perm_b32 v76, v53, v52, s63                              // 000000005698: D1ED004C 00FE6935
	v_perm_b32 v77, v53, v52, s64                              // 0000000056A0: D1ED004D 01026935
	v_perm_b32 v78, v55, v54, s63                              // 0000000056A8: D1ED004E 00FE6D37
	v_perm_b32 v79, v55, v54, s64                              // 0000000056B0: D1ED004F 01026D37
	v_mov_b32_dpp v131, v128 quad_perm:[3,3,3,3] row_mask:0xf bank_mask:0xf// 0000000056B8: 7F0602FA FF00FF80
	v_mov_b32_dpp v130, v128 quad_perm:[2,2,2,2] row_mask:0xf bank_mask:0xf// 0000000056C0: 7F0402FA FF00AA80
	v_mov_b32_dpp v129, v128 quad_perm:[1,1,1,1] row_mask:0xf bank_mask:0xf// 0000000056C8: 7F0202FA FF005580
	v_mov_b32_dpp v128, v128 quad_perm:[0,0,0,0] row_mask:0xf bank_mask:0xf// 0000000056D0: 7F0002FA FF000080
	s_waitcnt vmcnt(13)                                        // 0000000056D8: BF8C0F7D
	s_barrier                                                  // 0000000056DC: BF8A0000
	s_cmp_lt_i32 s46, 2                                        // 0000000056E0: BF04822E
	s_cbranch_scc0 label_0A38                                  // 0000000056E4: BF8403FE

00000000000056e8 <label_063A>:
	s_waitcnt lgkmcnt(0)                                       // 0000000056E8: BF8CC07F
	s_barrier                                                  // 0000000056EC: BF8A0000
	v_mfma_f32_16x16x16_f16 v[56:59], a[72:73], a[0:1], 0      // 0000000056F0: D3CD0038 1A020148
	ds_write_b32 v11, v50 offset:13056                         // 0000000056F8: D81A3300 0000320B
	ds_write_b32 v11, v51 offset:14112                         // 000000005700: D81A3720 0000330B
	ds_write_b32 v11, v52 offset:15232                         // 000000005708: D81A3B80 0000340B
	v_mfma_f32_16x16x16_f16 v[56:59], a[74:75], a[2:3], v[56:59]// 000000005710: D3CD0038 1CE2054A
	v_mul_f32_e32 v132, s47, v132                              // 000000005718: 0B09082F
	v_mul_f32_e32 v133, s47, v133                              // 00000000571C: 0B0B0A2F
	v_mul_f32_e32 v134, s47, v134                              // 000000005720: 0B0D0C2F
	v_mul_f32_e32 v135, s47, v135                              // 000000005724: 0B0F0E2F
	v_mfma_f32_16x16x16_f16 v[56:59], a[76:77], a[4:5], v[56:59]// 000000005728: D3CD0038 1CE2094C
	ds_write_b32 v11, v53 offset:16288                         // 000000005730: D81A3FA0 0000350B
	ds_write_b32 v11, v54 offset:17408                         // 000000005738: D81A4400 0000360B
	ds_write_b32 v11, v55 offset:18464                         // 000000005740: D81A4820 0000370B
	v_mfma_f32_16x16x16_f16 v[56:59], a[78:79], a[6:7], v[56:59]// 000000005748: D3CD0038 1CE20D4E
	v_mul_f32_e32 v136, s47, v136                              // 000000005750: 0B11102F
	v_mul_f32_e32 v137, s47, v137                              // 000000005754: 0B13122F
	v_mul_f32_e32 v138, s47, v138                              // 000000005758: 0B15142F
	v_mul_f32_e32 v139, s47, v139                              // 00000000575C: 0B17162F
	v_mfma_f32_16x16x16_f16 v[56:59], a[80:81], a[8:9], v[56:59]// 000000005760: D3CD0038 1CE21150
	ds_write_b64 v20, v[132:133] offset:28416                  // 000000005768: D89A6F00 00008414
	ds_write_b64 v20, v[134:135] offset:28928                  // 000000005770: D89A7100 00008614
	v_mfma_f32_16x16x16_f16 v[56:59], a[82:83], a[10:11], v[56:59]// 000000005778: D3CD0038 1CE21552
	v_mul_f32_e32 v140, s47, v140                              // 000000005780: 0B19182F
	v_mul_f32_e32 v141, s47, v141                              // 000000005784: 0B1B1A2F
	v_mul_f32_e32 v142, s47, v142                              // 000000005788: 0B1D1C2F
	v_mul_f32_e32 v143, s47, v143                              // 00000000578C: 0B1F1E2F
	v_mfma_f32_16x16x16_f16 v[56:59], a[84:85], a[12:13], v[56:59]// 000000005790: D3CD0038 1CE21954
	ds_write_b64 v20, v[136:137] offset:29440                  // 000000005798: D89A7300 00008814
	ds_write_b64 v20, v[138:139] offset:29952                  // 0000000057A0: D89A7500 00008A14
	v_mfma_f32_16x16x16_f16 v[56:59], a[86:87], a[14:15], v[56:59]// 0000000057A8: D3CD0038 1CE21D56
	ds_write_b64 v20, v[140:141] offset:30464                  // 0000000057B0: D89A7700 00008C14
	ds_write_b64 v20, v[142:143] offset:30976                  // 0000000057B8: D89A7900 00008E14
	v_mfma_f32_16x16x16_f16 v[56:59], a[88:89], a[16:17], v[56:59]// 0000000057C0: D3CD0038 1CE22158
	ds_read_b128 v[104:107], v12 offset:19584                  // 0000000057C8: D9FE4C80 6800000C
	v_mfma_f32_16x16x16_f16 v[56:59], a[90:91], a[18:19], v[56:59]// 0000000057D0: D3CD0038 1CE2255A
	ds_read_b128 v[108:111], v12 offset:20096                  // 0000000057D8: D9FE4E80 6C00000C
	v_mfma_f32_16x16x16_f16 v[56:59], a[92:93], a[20:21], v[56:59]// 0000000057E0: D3CD0038 1CE2295C
	ds_read_b128 v[112:115], v12 offset:21760                  // 0000000057E8: D9FE5500 7000000C
	ds_read_b128 v[116:119], v12 offset:22272                  // 0000000057F0: D9FE5700 7400000C
	v_mfma_f32_16x16x16_f16 v[56:59], a[94:95], a[22:23], v[56:59]// 0000000057F8: D3CD0038 1CE22D5E
	ds_read_b128 v[120:123], v12 offset:23936                  // 000000005800: D9FE5D80 7800000C
	ds_read_b128 v[124:127], v12 offset:24448                  // 000000005808: D9FE5F80 7C00000C
	s_cmp_lt_i32 s74, 4                                        // 000000005810: BF04844A
	s_cbranch_scc0 label_06B0                                  // 000000005814: BF84002A
	s_mov_b32 s60, 0xffe0fffe                                  // 000000005818: BEBC00FF FFE0FFFE
	s_mov_b32 s61, 0xe000fe00                                  // 000000005820: BEBD00FF E000FE00
	s_nop 0                                                    // 000000005828: BF800000
	s_cmp_lt_i32 s74, s46                                      // 00000000582C: BF042E4A
	s_cbranch_scc1 label_06AB                                  // 000000005830: BF85001E
	s_cmp_eq_i32 s74, s46                                      // 000000005834: BF002E4A
	s_cbranch_scc1 label_0690                                  // 000000005838: BF850001
	s_branch label_06B0                                        // 00000000583C: BF820020

0000000000005840 <label_0690>:
	v_cndmask_b32_e64 v56, v56, v159, s[60:61]                 // 000000005840: D1000038 00F33F38
	s_lshl_b32 s60, s60, 1                                     // 000000005848: 8E3C813C
	s_lshl_b32 s61, s61, 1                                     // 00000000584C: 8E3D813D
	s_and_b32 s60, 0xfffeffff, s60                             // 000000005850: 863C3CFF FFFEFFFF
	s_and_b32 s61, 0xfffeffff, s61                             // 000000005858: 863D3DFF FFFEFFFF
	v_cndmask_b32_e64 v57, v57, v159, s[60:61]                 // 000000005860: D1000039 00F33F39
	s_lshl_b32 s60, s60, 1                                     // 000000005868: 8E3C813C
	s_lshl_b32 s61, s61, 1                                     // 00000000586C: 8E3D813D
	s_and_b32 s60, 0xfffeffff, s60                             // 000000005870: 863C3CFF FFFEFFFF
	s_and_b32 s61, 0xfffeffff, s61                             // 000000005878: 863D3DFF FFFEFFFF
	v_cndmask_b32_e64 v58, v58, v159, s[60:61]                 // 000000005880: D100003A 00F33F3A
	s_lshl_b32 s60, s60, 1                                     // 000000005888: 8E3C813C
	s_lshl_b32 s61, s61, 1                                     // 00000000588C: 8E3D813D
	s_and_b32 s60, 0xfffeffff, s60                             // 000000005890: 863C3CFF FFFEFFFF
	s_and_b32 s61, 0xfffeffff, s61                             // 000000005898: 863D3DFF FFFEFFFF
	v_cndmask_b32_e64 v59, v59, v159, s[60:61]                 // 0000000058A0: D100003B 00F33F3B
	s_branch label_06B0                                        // 0000000058A8: BF820005

00000000000058ac <label_06AB>:
	v_mov_b32_e32 v56, v159                                    // 0000000058AC: 7E70039F
	v_mov_b32_e32 v57, v159                                    // 0000000058B0: 7E72039F
	v_mov_b32_e32 v58, v159                                    // 0000000058B4: 7E74039F
	v_mov_b32_e32 v59, v159                                    // 0000000058B8: 7E76039F
	s_branch label_06B0                                        // 0000000058BC: BF820000

00000000000058c0 <label_06B0>:
	s_cmp_lt_i32 s98, 64                                       // 0000000058C0: BF04C062
	s_cbranch_scc0 label_06C1                                  // 0000000058C4: BF84000F
	v_and_b32_e32 v28, 15, v0                                  // 0000000058C8: 2638008F
	v_mul_i32_i24_e64 v29, s46, 16                             // 0000000058CC: D106001D 0001202E
	v_add_u32_e32 v28, v28, v29                                // 0000000058D4: 68383B1C
	v_cmp_lt_u32_e64 s[60:61], v28, s98                        // 0000000058D8: D0C9003C 0000C51C
	s_nop 1                                                    // 0000000058E0: BF800001
	v_cndmask_b32_e64 v56, v159, v56, s[60:61]                 // 0000000058E4: D1000038 00F2719F
	v_cndmask_b32_e64 v57, v159, v57, s[60:61]                 // 0000000058EC: D1000039 00F2739F
	v_cndmask_b32_e64 v58, v159, v58, s[60:61]                 // 0000000058F4: D100003A 00F2759F
	v_cndmask_b32_e64 v59, v159, v59, s[60:61]                 // 0000000058FC: D100003B 00F2779F

0000000000005904 <label_06C1>:
	s_addk_i32 s74, 0x1                                        // 000000005904: B74A0001
	s_waitcnt lgkmcnt(6)                                       // 000000005908: BF8CC67F
	s_barrier                                                  // 00000000590C: BF8A0000
	v_mfma_f32_16x16x16_f16 v[64:67], v[80:81], a[48:49], 0    // 000000005910: D3CD0040 12026150
	ds_read_b128 a[72:75], v12 offset:6528                     // 000000005918: DBFE1980 4800000C
	ds_read_b128 a[76:79], v12 offset:7040                     // 000000005920: DBFE1B80 4C00000C
	ds_write_b32 v11, v38                                      // 000000005928: D81A0000 0000260B
	ds_write_b32 v11, v39 offset:1056                          // 000000005930: D81A0420 0000270B
	v_mfma_f32_16x16x16_f16 v[64:67], v[82:83], a[50:51], v[64:67]// 000000005938: D3CD0040 15026552
	v_fma_f32 v56, v56, s57, -v128                             // 000000005940: D1CB0038 86007338
	v_fma_f32 v57, v57, s57, -v129                             // 000000005948: D1CB0039 86047339
	v_fma_f32 v58, v58, s57, -v130                             // 000000005950: D1CB003A 8608733A
	v_fma_f32 v59, v59, s57, -v131                             // 000000005958: D1CB003B 860C733B
	v_mfma_f32_16x16x16_f16 v[64:67], v[84:85], a[52:53], v[64:67]// 000000005960: D3CD0040 15026954
	ds_read_b128 a[80:83], v12 offset:8704                     // 000000005968: DBFE2200 5000000C
	ds_read_b128 a[84:87], v12 offset:9216                     // 000000005970: DBFE2400 5400000C
	ds_write_b32 v11, v40 offset:2176                          // 000000005978: D81A0880 0000280B
	v_mfma_f32_16x16x16_f16 v[64:67], v[86:87], a[54:55], v[64:67]// 000000005980: D3CD0040 15026D56
	v_exp_f32_e32 v56, v56                                     // 000000005988: 7E704138
	v_mfma_f32_16x16x16_f16 v[64:67], v[88:89], a[56:57], v[64:67]// 00000000598C: D3CD0040 15027158
	ds_read_b128 a[88:91], v12 offset:10880                    // 000000005994: DBFE2A80 5800000C
	ds_read_b128 a[92:95], v12 offset:11392                    // 00000000599C: DBFE2C80 5C00000C
	ds_write_b32 v11, v41 offset:3232                          // 0000000059A4: D81A0CA0 0000290B
	v_mfma_f32_16x16x16_f16 v[64:67], v[90:91], a[58:59], v[64:67]// 0000000059AC: D3CD0040 1502755A
	v_exp_f32_e32 v57, v57                                     // 0000000059B4: 7E724139
	v_mfma_f32_16x16x16_f16 v[64:67], v[92:93], a[60:61], v[64:67]// 0000000059B8: D3CD0040 1502795C
	ds_read_b64 v[144:145], v19 offset:28416                   // 0000000059C0: D8EC6F00 90000013
	ds_read_b64 v[146:147], v19 offset:30464                   // 0000000059C8: D8EC7700 92000013
	ds_read_b64 v[148:149], v19 offset:32512                   // 0000000059D0: D8EC7F00 94000013
	ds_write_b32 v11, v42 offset:4352                          // 0000000059D8: D81A1100 00002A0B
	v_mfma_f32_16x16x16_f16 v[64:67], v[94:95], a[62:63], v[64:67]// 0000000059E0: D3CD0040 15027D5E
	v_exp_f32_e32 v58, v58                                     // 0000000059E8: 7E74413A
	v_mfma_f32_16x16x16_f16 v[64:67], v[96:97], a[64:65], v[64:67]// 0000000059EC: D3CD0040 15028160
	ds_read_b64 v[150:151], v19 offset:34560                   // 0000000059F4: D8EC8700 96000013
	ds_read_b64 v[152:153], v19 offset:36608                   // 0000000059FC: D8EC8F00 98000013
	ds_read_b64 v[154:155], v19 offset:38656                   // 000000005A04: D8EC9700 9A000013
	ds_write_b32 v11, v43 offset:5408                          // 000000005A0C: D81A1520 00002B0B
	v_mfma_f32_16x16x16_f16 v[64:67], v[98:99], a[66:67], v[64:67]// 000000005A14: D3CD0040 15028562
	v_exp_f32_e32 v59, v59                                     // 000000005A1C: 7E76413B
	v_mfma_f32_16x16x16_f16 v[64:67], v[100:101], a[68:69], v[64:67]// 000000005A20: D3CD0040 15028964
	v_cvt_pkrtz_f16_f32 v156, v56, v57                         // 000000005A28: D296009C 00027338
	v_mfma_f32_16x16x16_f16 v[64:67], v[102:103], a[70:71], v[64:67]// 000000005A30: D3CD0040 15028D66
	v_cvt_pkrtz_f16_f32 v157, v58, v59                         // 000000005A38: D296009D 0002773A
	v_add_u32_e32 v7, s66, v7                                  // 000000005A40: 680E0E42
	v_add_u32_e32 v8, s66, v8                                  // 000000005A44: 68101042
	s_waitcnt lgkmcnt(0)                                       // 000000005A48: BF8CC07F
	s_barrier                                                  // 000000005A4C: BF8A0000
	v_mfma_f32_16x16x16_f16 v[160:163], v[104:105], v[156:157], v[160:163]// 000000005A50: D3CD00A0 06833968
	v_subrev_f32_dpp v64, v158, v64 quad_perm:[0,0,0,0] row_mask:0xf bank_mask:0xf// 000000005A58: 068080FA FF00009E
	v_subrev_f32_dpp v65, v158, v65 quad_perm:[1,1,1,1] row_mask:0xf bank_mask:0xf// 000000005A60: 068282FA FF00559E
	buffer_atomic_add_f32 v144, v7, s[32:35], 0 offen          // 000000005A68: E1341000 80089007
	v_mfma_f32_16x16x16_f16 v[164:167], v[106:107], v[156:157], v[164:167]// 000000005A70: D3CD00A4 0693396A
	v_subrev_f32_dpp v66, v158, v66 quad_perm:[2,2,2,2] row_mask:0xf bank_mask:0xf// 000000005A78: 068484FA FF00AA9E
	v_subrev_f32_dpp v67, v158, v67 quad_perm:[3,3,3,3] row_mask:0xf bank_mask:0xf// 000000005A80: 068686FA FF00FF9E
	buffer_atomic_add_f32 v145, v8, s[32:35], 0 offen          // 000000005A88: E1341000 80089108
	v_mfma_f32_16x16x16_f16 v[168:171], v[108:109], v[156:157], v[168:171]// 000000005A90: D3CD00A8 06A3396C
	v_mul_f32_e32 v64, v56, v64                                // 000000005A98: 0A808138
	v_mul_f32_e32 v65, v57, v65                                // 000000005A9C: 0A828339
	buffer_atomic_add_f32 v146, v7, s[32:35], 0 offen offset:128// 000000005AA0: E1341080 80089207
	v_mfma_f32_16x16x16_f16 v[172:175], v[110:111], v[156:157], v[172:175]// 000000005AA8: D3CD00AC 06B3396E
	v_mul_f32_e32 v66, v58, v66                                // 000000005AB0: 0A84853A
	v_mul_f32_e32 v67, v59, v67                                // 000000005AB4: 0A86873B
	buffer_atomic_add_f32 v147, v8, s[32:35], 0 offen offset:128// 000000005AB8: E1341080 80089308
	v_mfma_f32_16x16x16_f16 v[176:179], v[112:113], v[156:157], v[176:179]// 000000005AC0: D3CD00B0 06C33970
	v_cvt_pkrtz_f16_f32 v64, v64, v65                          // 000000005AC8: D2960040 00028340
	v_mfma_f32_16x16x16_f16 v[180:183], v[114:115], v[156:157], v[180:183]// 000000005AD0: D3CD00B4 06D33972
	v_cvt_pkrtz_f16_f32 v65, v66, v67                          // 000000005AD8: D2960041 00028742
	v_mfma_f32_16x16x16_f16 v[184:187], v[116:117], v[156:157], v[184:187]// 000000005AE0: D3CD00B8 06E33974
	v_mov_b32_dpp v16, v64 quad_perm:[1,0,3,2] row_mask:0xf bank_mask:0xf// 000000005AE8: 7E2002FA FF00B140
	v_perm_b32 v56, v16, v64, v15                              // 000000005AF0: D1ED0038 043E8110
	buffer_atomic_add_f32 v148, v7, s[32:35], 0 offen offset:256// 000000005AF8: E1341100 80089407
	v_mfma_f32_16x16x16_f16 v[188:191], v[118:119], v[156:157], v[188:191]// 000000005B00: D3CD00BC 06F33976
	v_mov_b32_dpp v16, v65 quad_perm:[1,0,3,2] row_mask:0xf bank_mask:0xf// 000000005B08: 7E2002FA FF00B141
	v_perm_b32 v57, v16, v65, v15                              // 000000005B10: D1ED0039 043E8310
	buffer_atomic_add_f32 v149, v8, s[32:35], 0 offen offset:256// 000000005B18: E1341100 80089508
	v_mfma_f32_16x16x16_f16 v[192:195], v[120:121], v[156:157], v[192:195]// 000000005B20: D3CD00C0 07033978
	ds_write_b32 v13, v68 offset:6528                          // 000000005B28: D81A1980 0000440D
	ds_write_b32 v13, v69 offset:7584                          // 000000005B30: D81A1DA0 0000450D
	v_mfma_f32_16x16x16_f16 v[196:199], v[122:123], v[156:157], v[196:199]// 000000005B38: D3CD00C4 0713397A
	ds_write_b32 v18, v56 offset:26112                         // 000000005B40: D81A6600 00003812
	ds_write_b32 v18, v57 offset:26656                         // 000000005B48: D81A6820 00003912
	v_mfma_f32_16x16x16_f16 v[200:203], v[124:125], v[156:157], v[200:203]// 000000005B50: D3CD00C8 0723397C
	ds_write_b32 v13, v70 offset:8704                          // 000000005B58: D81A2200 0000460D
	ds_write_b32 v13, v71 offset:9760                          // 000000005B60: D81A2620 0000470D
	v_mfma_f32_16x16x16_f16 v[204:207], v[126:127], v[156:157], v[204:207]// 000000005B68: D3CD00CC 0733397E
	ds_write_b32 v13, v72 offset:10880                         // 000000005B70: D81A2A80 0000480D
	ds_write_b32 v13, v73 offset:11936                         // 000000005B78: D81A2EA0 0000490D
	s_barrier                                                  // 000000005B80: BF8A0000
	v_mfma_f32_16x16x16_f16 a[96:99], a[72:73], v[64:65], a[96:99]// 000000005B84: D3CD8060 0D828148
	buffer_atomic_add_f32 v150, v7, s[32:35], 0 offen offset:384// 000000005B8C: E1341180 80089607
	buffer_atomic_add_f32 v151, v8, s[32:35], 0 offen offset:384// 000000005B94: E1341180 80089708
	v_mfma_f32_16x16x16_f16 a[100:103], a[74:75], v[64:65], a[100:103]// 000000005B9C: D3CD8064 0D92814A
	ds_read_b32 v128, v21 offset:41216                         // 000000005BA4: D86CA100 80000015
	ds_read_b32 v158, v21 offset:41472                         // 000000005BAC: D86CA200 9E000015
	v_mfma_f32_16x16x16_f16 a[104:107], a[76:77], v[64:65], a[104:107]// 000000005BB4: D3CD8068 0DA2814C
	s_waitcnt lgkmcnt(6)                                       // 000000005BBC: BF8CC67F
	s_barrier                                                  // 000000005BC0: BF8A0000
	v_mfma_f32_16x16x16_f16 a[108:111], a[78:79], v[64:65], a[108:111]// 000000005BC4: D3CD806C 0DB2814E
	ds_read_b128 v[56:59], v17 offset:26112                    // 000000005BCC: D9FE6600 38000011
	v_mfma_f32_16x16x16_f16 a[112:115], a[80:81], v[64:65], a[112:115]// 000000005BD4: D3CD8070 0DC28150
	s_mov_b64 exec, s[92:93]                                   // 000000005BDC: BEFE015C
	buffer_atomic_add_f32 v152, v7, s[32:35], 0 offen offset:512// 000000005BE0: E1341200 80089807
	s_mov_b32 exec_lo, -1                                      // 000000005BE8: BEFE00C1
	s_mov_b32 exec_hi, -1                                      // 000000005BEC: BEFF00C1
	v_mfma_f32_16x16x16_f16 a[116:119], a[82:83], v[64:65], a[116:119]// 000000005BF0: D3CD8074 0DD28152
	ds_read_b128 v[60:63], v17 offset:27264                    // 000000005BF8: D9FE6A80 3C000011
	v_mfma_f32_16x16x16_f16 a[120:123], a[84:85], v[64:65], a[120:123]// 000000005C00: D3CD8078 0DE28154
	s_mov_b64 exec, s[92:93]                                   // 000000005C08: BEFE015C
	buffer_atomic_add_f32 v153, v8, s[32:35], 0 offen offset:512// 000000005C0C: E1341200 80089908
	s_mov_b32 exec_lo, -1                                      // 000000005C14: BEFE00C1
	s_mov_b32 exec_hi, -1                                      // 000000005C18: BEFF00C1
	v_mfma_f32_16x16x16_f16 a[124:127], a[86:87], v[64:65], a[124:127]// 000000005C1C: D3CD807C 0DF28156
	ds_write_b32 v13, v74 offset:19584                         // 000000005C24: D81A4C80 00004A0D
	ds_write_b32 v13, v75 offset:20640                         // 000000005C2C: D81A50A0 00004B0D
	v_mfma_f32_16x16x16_f16 a[128:131], a[88:89], v[64:65], a[128:131]// 000000005C34: D3CD8080 0E028158
	s_mov_b64 exec, s[94:95]                                   // 000000005C3C: BEFE015E
	buffer_atomic_add_f32 v154, v7, s[32:35], 0 offen offset:640// 000000005C40: E1341280 80089A07
	s_mov_b32 exec_lo, -1                                      // 000000005C48: BEFE00C1
	s_mov_b32 exec_hi, -1                                      // 000000005C4C: BEFF00C1
	v_mfma_f32_16x16x16_f16 a[132:135], a[90:91], v[64:65], a[132:135]// 000000005C50: D3CD8084 0E12815A
	ds_write_b32 v13, v76 offset:21760                         // 000000005C58: D81A5500 00004C0D
	ds_write_b32 v13, v77 offset:22816                         // 000000005C60: D81A5920 00004D0D
	v_mfma_f32_16x16x16_f16 a[136:139], a[92:93], v[64:65], a[136:139]// 000000005C68: D3CD8088 0E22815C
	s_mov_b64 exec, s[94:95]                                   // 000000005C70: BEFE015E
	buffer_atomic_add_f32 v155, v8, s[32:35], 0 offen offset:640// 000000005C74: E1341280 80089B08
	s_mov_b32 exec_lo, -1                                      // 000000005C7C: BEFE00C1
	s_mov_b32 exec_hi, -1                                      // 000000005C80: BEFF00C1
	v_mfma_f32_16x16x16_f16 a[140:143], a[94:95], v[64:65], a[140:143]// 000000005C84: D3CD808C 0E32815E
	ds_write_b32 v13, v78 offset:23936                         // 000000005C8C: D81A5D80 00004E0D
	ds_write_b32 v13, v79 offset:24992                         // 000000005C94: D81A61A0 00004F0D
	s_waitcnt vmcnt(12) lgkmcnt(6)                             // 000000005C9C: BF8C067C
	s_barrier                                                  // 000000005CA0: BF8A0000
	v_mfma_f32_16x16x16_f16 v[132:135], v[56:57], a[24:25], 0  // 000000005CA4: D3CD0084 12023138
	v_mul_f32_e32 v128, s48, v128                              // 000000005CAC: 0B010030
	v_perm_b32 v68, v33, v32, s63                              // 000000005CB0: D1ED0044 00FE4121
	v_perm_b32 v69, v33, v32, s64                              // 000000005CB8: D1ED0045 01024121
	v_perm_b32 v70, v35, v34, s63                              // 000000005CC0: D1ED0046 00FE4523
	v_mfma_f32_16x16x16_f16 v[132:135], v[58:59], a[30:31], v[132:135]// 000000005CC8: D3CD0084 16123D3A
	ds_read_b128 a[72:75], v10                                 // 000000005CD0: DBFE0000 4800000A
	ds_read_b128 a[76:79], v10 offset:512                      // 000000005CD8: DBFE0200 4C00000A
	ds_read_b128 a[80:83], v10 offset:2176                     // 000000005CE0: DBFE0880 5000000A
	buffer_load_dword v38, v1, s[8:11], 0 idxen                // 000000005CE8: E0502000 80022601
	buffer_load_dword v39, v2, s[8:11], 0 idxen                // 000000005CF0: E0502000 80022702
	v_mfma_f32_16x16x16_f16 v[132:135], v[60:61], a[36:37], v[132:135]// 000000005CF8: D3CD0084 1612493C
	v_perm_b32 v71, v35, v34, s64                              // 000000005D00: D1ED0047 01024523
	v_perm_b32 v72, v37, v36, s63                              // 000000005D08: D1ED0048 00FE4925
	v_perm_b32 v73, v37, v36, s64                              // 000000005D10: D1ED0049 01024925
	v_mfma_f32_16x16x16_f16 v[132:135], v[62:63], a[42:43], v[132:135]// 000000005D18: D3CD0084 1612553E
	ds_read_b128 a[84:87], v10 offset:2688                     // 000000005D20: DBFE0A80 5400000A
	ds_read_b128 a[88:91], v10 offset:4352                     // 000000005D28: DBFE1100 5800000A
	ds_read_b128 a[92:95], v10 offset:4864                     // 000000005D30: DBFE1300 5C00000A
	buffer_load_dword v40, v1, s[8:11], 0 idxen offset:128     // 000000005D38: E0502080 80022801
	buffer_load_dword v41, v2, s[8:11], 0 idxen offset:128     // 000000005D40: E0502080 80022902
	v_mfma_f32_16x16x16_f16 v[136:139], v[56:57], a[26:27], 0  // 000000005D48: D3CD0088 12023538
	v_perm_b32 v74, v45, v44, s63                              // 000000005D50: D1ED004A 00FE592D
	v_perm_b32 v75, v45, v44, s64                              // 000000005D58: D1ED004B 0102592D
	v_perm_b32 v76, v47, v46, s63                              // 000000005D60: D1ED004C 00FE5D2F
	v_mov_b32_dpp v131, v128 quad_perm:[3,3,3,3] row_mask:0xf bank_mask:0xf// 000000005D68: 7F0602FA FF00FF80
	v_mov_b32_dpp v130, v128 quad_perm:[2,2,2,2] row_mask:0xf bank_mask:0xf// 000000005D70: 7F0402FA FF00AA80
	v_mfma_f32_16x16x16_f16 v[136:139], v[58:59], a[32:33], v[136:139]// 000000005D78: D3CD0088 1622413A
	ds_read_b128 v[80:83], v10 offset:13056                    // 000000005D80: D9FE3300 5000000A
	ds_read_b128 v[84:87], v10 offset:13568                    // 000000005D88: D9FE3500 5400000A
	ds_read_b128 v[88:91], v10 offset:15232                    // 000000005D90: D9FE3B80 5800000A
	buffer_load_dword v50, v208, s[20:23], 0 idxen             // 000000005D98: E0502000 800532D0
	buffer_load_dword v51, v209, s[20:23], 0 idxen             // 000000005DA0: E0502000 800533D1
	v_mfma_f32_16x16x16_f16 v[136:139], v[60:61], a[38:39], v[136:139]// 000000005DA8: D3CD0088 16224D3C
	v_perm_b32 v77, v47, v46, s64                              // 000000005DB0: D1ED004D 01025D2F
	v_perm_b32 v78, v49, v48, s63                              // 000000005DB8: D1ED004E 00FE6131
	v_perm_b32 v79, v49, v48, s64                              // 000000005DC0: D1ED004F 01026131
	v_mov_b32_dpp v129, v128 quad_perm:[1,1,1,1] row_mask:0xf bank_mask:0xf// 000000005DC8: 7F0202FA FF005580
	v_mov_b32_dpp v128, v128 quad_perm:[0,0,0,0] row_mask:0xf bank_mask:0xf// 000000005DD0: 7F0002FA FF000080
	v_mfma_f32_16x16x16_f16 v[136:139], v[62:63], a[44:45], v[136:139]// 000000005DD8: D3CD0088 1622593E
	ds_read_b128 v[92:95], v10 offset:15744                    // 000000005DE0: D9FE3D80 5C00000A
	ds_read_b128 v[96:99], v10 offset:17408                    // 000000005DE8: D9FE4400 6000000A
	ds_read_b128 v[100:103], v10 offset:17920                  // 000000005DF0: D9FE4600 6400000A
	buffer_load_dword v52, v208, s[20:23], 0 idxen offset:128  // 000000005DF8: E0502080 800534D0
	buffer_load_dword v53, v209, s[20:23], 0 idxen offset:128  // 000000005E00: E0502080 800535D1
	v_mfma_f32_16x16x16_f16 v[140:143], v[56:57], a[28:29], 0  // 000000005E08: D3CD008C 12023938
	s_add_u32 s60, 64, s59                                     // 000000005E10: 803C3BC0
	s_cmp_lt_u32 s60, s58                                      // 000000005E14: BF0A3A3C
	s_cselect_b32 s68, s68, 0                                  // 000000005E18: 85448044
	s_cselect_b32 s97, s97, 0                                  // 000000005E1C: 85618061
	s_cselect_b32 s69, s69, 0                                  // 000000005E20: 85458045
	v_mfma_f32_16x16x16_f16 v[140:143], v[58:59], a[34:35], v[140:143]// 000000005E24: D3CD008C 1632453A
	buffer_load_dword v9, s[24:27], 0 idxen lds                // 000000005E2C: E0512000 80060009
	v_mov_b32_e32 v42, 0                                       // 000000005E34: 7E540280
	s_mov_b64 exec, s[88:89]                                   // 000000005E38: BEFE0158
	buffer_load_dword v42, v1, s[8:11], 0 idxen offset:256     // 000000005E3C: E0502100 80022A01
	s_mov_b32 exec_lo, -1                                      // 000000005E44: BEFE00C1
	s_mov_b32 exec_hi, -1                                      // 000000005E48: BEFF00C1
	v_mov_b32_e32 v43, 0                                       // 000000005E4C: 7E560280
	s_mov_b64 exec, s[88:89]                                   // 000000005E50: BEFE0158
	buffer_load_dword v43, v2, s[8:11], 0 idxen offset:256     // 000000005E54: E0502100 80022B02
	s_mov_b32 exec_lo, -1                                      // 000000005E5C: BEFE00C1
	s_mov_b32 exec_hi, -1                                      // 000000005E60: BEFF00C1
	v_mfma_f32_16x16x16_f16 v[140:143], v[60:61], a[40:41], v[140:143]// 000000005E64: D3CD008C 1632513C
	v_mov_b32_e32 v54, 0                                       // 000000005E6C: 7E6C0280
	s_mov_b64 exec, s[88:89]                                   // 000000005E70: BEFE0158
	buffer_load_dword v54, v208, s[20:23], 0 idxen offset:256  // 000000005E74: E0502100 800536D0
	s_mov_b32 exec_lo, -1                                      // 000000005E7C: BEFE00C1
	s_mov_b32 exec_hi, -1                                      // 000000005E80: BEFF00C1
	v_mov_b32_e32 v55, 0                                       // 000000005E84: 7E6E0280
	s_mov_b64 exec, s[88:89]                                   // 000000005E88: BEFE0158
	buffer_load_dword v55, v209, s[20:23], 0 idxen offset:256  // 000000005E8C: E0502100 800537D1
	s_mov_b32 exec_lo, -1                                      // 000000005E94: BEFE00C1
	s_mov_b32 exec_hi, -1                                      // 000000005E98: BEFF00C1
	v_add_u32_e32 v1, s68, v1                                  // 000000005E9C: 68020244
	v_add_u32_e32 v2, s68, v2                                  // 000000005EA0: 68040444
	v_add_u32_e32 v208, s97, v208                              // 000000005EA4: 69A1A061
	v_add_u32_e32 v209, s97, v209                              // 000000005EA8: 69A3A261
	s_mov_b32 m0, s78                                          // 000000005EAC: BEFC004E
	v_add_u32_e32 v9, s69, v9                                  // 000000005EB0: 68121245
	v_mfma_f32_16x16x16_f16 v[140:143], v[62:63], a[46:47], v[140:143]// 000000005EB4: D3CD008C 16325D3E
	s_cmp_ge_u32 s59, s73                                      // 000000005EBC: BF09493B
	s_cselect_b32 s66, s67, s66                                // 000000005EC0: 85424243
	s_addk_i32 s59, 0x10                                       // 000000005EC4: B73B0010
	s_nop 0                                                    // 000000005EC8: BF800000
	s_cmp_lt_i32 s59, s58                                      // 000000005ECC: BF043A3B
	s_cbranch_scc0 label_0A31                                  // 000000005ED0: BF8401FC
	s_waitcnt lgkmcnt(0)                                       // 000000005ED4: BF8CC07F
	s_barrier                                                  // 000000005ED8: BF8A0000
	v_mfma_f32_16x16x16_f16 v[56:59], a[72:73], a[0:1], 0      // 000000005EDC: D3CD0038 1A020148
	ds_write_b32 v11, v44 offset:13056                         // 000000005EE4: D81A3300 00002C0B
	ds_write_b32 v11, v45 offset:14112                         // 000000005EEC: D81A3720 00002D0B
	ds_write_b32 v11, v46 offset:15232                         // 000000005EF4: D81A3B80 00002E0B
	v_mfma_f32_16x16x16_f16 v[56:59], a[74:75], a[2:3], v[56:59]// 000000005EFC: D3CD0038 1CE2054A
	v_mul_f32_e32 v132, s47, v132                              // 000000005F04: 0B09082F
	v_mul_f32_e32 v133, s47, v133                              // 000000005F08: 0B0B0A2F
	v_mul_f32_e32 v134, s47, v134                              // 000000005F0C: 0B0D0C2F
	v_mul_f32_e32 v135, s47, v135                              // 000000005F10: 0B0F0E2F
	v_mfma_f32_16x16x16_f16 v[56:59], a[76:77], a[4:5], v[56:59]// 000000005F14: D3CD0038 1CE2094C
	ds_write_b32 v11, v47 offset:16288                         // 000000005F1C: D81A3FA0 00002F0B
	ds_write_b32 v11, v48 offset:17408                         // 000000005F24: D81A4400 0000300B
	ds_write_b32 v11, v49 offset:18464                         // 000000005F2C: D81A4820 0000310B
	v_mfma_f32_16x16x16_f16 v[56:59], a[78:79], a[6:7], v[56:59]// 000000005F34: D3CD0038 1CE20D4E
	v_mul_f32_e32 v136, s47, v136                              // 000000005F3C: 0B11102F
	v_mul_f32_e32 v137, s47, v137                              // 000000005F40: 0B13122F
	v_mul_f32_e32 v138, s47, v138                              // 000000005F44: 0B15142F
	v_mul_f32_e32 v139, s47, v139                              // 000000005F48: 0B17162F
	v_mfma_f32_16x16x16_f16 v[56:59], a[80:81], a[8:9], v[56:59]// 000000005F4C: D3CD0038 1CE21150
	ds_write_b64 v20, v[132:133] offset:28416                  // 000000005F54: D89A6F00 00008414
	ds_write_b64 v20, v[134:135] offset:28928                  // 000000005F5C: D89A7100 00008614
	v_mfma_f32_16x16x16_f16 v[56:59], a[82:83], a[10:11], v[56:59]// 000000005F64: D3CD0038 1CE21552
	v_mul_f32_e32 v140, s47, v140                              // 000000005F6C: 0B19182F
	v_mul_f32_e32 v141, s47, v141                              // 000000005F70: 0B1B1A2F
	v_mul_f32_e32 v142, s47, v142                              // 000000005F74: 0B1D1C2F
	v_mul_f32_e32 v143, s47, v143                              // 000000005F78: 0B1F1E2F
	v_mfma_f32_16x16x16_f16 v[56:59], a[84:85], a[12:13], v[56:59]// 000000005F7C: D3CD0038 1CE21954
	ds_write_b64 v20, v[136:137] offset:29440                  // 000000005F84: D89A7300 00008814
	ds_write_b64 v20, v[138:139] offset:29952                  // 000000005F8C: D89A7500 00008A14
	v_mfma_f32_16x16x16_f16 v[56:59], a[86:87], a[14:15], v[56:59]// 000000005F94: D3CD0038 1CE21D56
	ds_write_b64 v20, v[140:141] offset:30464                  // 000000005F9C: D89A7700 00008C14
	ds_write_b64 v20, v[142:143] offset:30976                  // 000000005FA4: D89A7900 00008E14
	v_mfma_f32_16x16x16_f16 v[56:59], a[88:89], a[16:17], v[56:59]// 000000005FAC: D3CD0038 1CE22158
	ds_read_b128 v[104:107], v12 offset:19584                  // 000000005FB4: D9FE4C80 6800000C
	v_mfma_f32_16x16x16_f16 v[56:59], a[90:91], a[18:19], v[56:59]// 000000005FBC: D3CD0038 1CE2255A
	ds_read_b128 v[108:111], v12 offset:20096                  // 000000005FC4: D9FE4E80 6C00000C
	v_mfma_f32_16x16x16_f16 v[56:59], a[92:93], a[20:21], v[56:59]// 000000005FCC: D3CD0038 1CE2295C
	ds_read_b128 v[112:115], v12 offset:21760                  // 000000005FD4: D9FE5500 7000000C
	ds_read_b128 v[116:119], v12 offset:22272                  // 000000005FDC: D9FE5700 7400000C
	v_mfma_f32_16x16x16_f16 v[56:59], a[94:95], a[22:23], v[56:59]// 000000005FE4: D3CD0038 1CE22D5E
	ds_read_b128 v[120:123], v12 offset:23936                  // 000000005FEC: D9FE5D80 7800000C
	ds_read_b128 v[124:127], v12 offset:24448                  // 000000005FF4: D9FE5F80 7C00000C
	s_cmp_lt_i32 s74, 4                                        // 000000005FFC: BF04844A
	s_cbranch_scc0 label_08AB                                  // 000000006000: BF84002A
	s_mov_b32 s60, 0xffe0fffe                                  // 000000006004: BEBC00FF FFE0FFFE
	s_mov_b32 s61, 0xe000fe00                                  // 00000000600C: BEBD00FF E000FE00
	s_nop 0                                                    // 000000006014: BF800000
	s_cmp_lt_i32 s74, s46                                      // 000000006018: BF042E4A
	s_cbranch_scc1 label_08A6                                  // 00000000601C: BF85001E
	s_cmp_eq_i32 s74, s46                                      // 000000006020: BF002E4A
	s_cbranch_scc1 label_088B                                  // 000000006024: BF850001
	s_branch label_08AB                                        // 000000006028: BF820020

000000000000602c <label_088B>:
	v_cndmask_b32_e64 v56, v56, v159, s[60:61]                 // 00000000602C: D1000038 00F33F38
	s_lshl_b32 s60, s60, 1                                     // 000000006034: 8E3C813C
	s_lshl_b32 s61, s61, 1                                     // 000000006038: 8E3D813D
	s_and_b32 s60, 0xfffeffff, s60                             // 00000000603C: 863C3CFF FFFEFFFF
	s_and_b32 s61, 0xfffeffff, s61                             // 000000006044: 863D3DFF FFFEFFFF
	v_cndmask_b32_e64 v57, v57, v159, s[60:61]                 // 00000000604C: D1000039 00F33F39
	s_lshl_b32 s60, s60, 1                                     // 000000006054: 8E3C813C
	s_lshl_b32 s61, s61, 1                                     // 000000006058: 8E3D813D
	s_and_b32 s60, 0xfffeffff, s60                             // 00000000605C: 863C3CFF FFFEFFFF
	s_and_b32 s61, 0xfffeffff, s61                             // 000000006064: 863D3DFF FFFEFFFF
	v_cndmask_b32_e64 v58, v58, v159, s[60:61]                 // 00000000606C: D100003A 00F33F3A
	s_lshl_b32 s60, s60, 1                                     // 000000006074: 8E3C813C
	s_lshl_b32 s61, s61, 1                                     // 000000006078: 8E3D813D
	s_and_b32 s60, 0xfffeffff, s60                             // 00000000607C: 863C3CFF FFFEFFFF
	s_and_b32 s61, 0xfffeffff, s61                             // 000000006084: 863D3DFF FFFEFFFF
	v_cndmask_b32_e64 v59, v59, v159, s[60:61]                 // 00000000608C: D100003B 00F33F3B
	s_branch label_08AB                                        // 000000006094: BF820005

0000000000006098 <label_08A6>:
	v_mov_b32_e32 v56, v159                                    // 000000006098: 7E70039F
	v_mov_b32_e32 v57, v159                                    // 00000000609C: 7E72039F
	v_mov_b32_e32 v58, v159                                    // 0000000060A0: 7E74039F
	v_mov_b32_e32 v59, v159                                    // 0000000060A4: 7E76039F
	s_branch label_08AB                                        // 0000000060A8: BF820000

00000000000060ac <label_08AB>:
	s_cmp_lt_i32 s98, 64                                       // 0000000060AC: BF04C062
	s_cbranch_scc0 label_08BC                                  // 0000000060B0: BF84000F
	v_and_b32_e32 v28, 15, v0                                  // 0000000060B4: 2638008F
	v_mul_i32_i24_e64 v29, s46, 16                             // 0000000060B8: D106001D 0001202E
	v_add_u32_e32 v28, v28, v29                                // 0000000060C0: 68383B1C
	v_cmp_lt_u32_e64 s[60:61], v28, s98                        // 0000000060C4: D0C9003C 0000C51C
	s_nop 1                                                    // 0000000060CC: BF800001
	v_cndmask_b32_e64 v56, v159, v56, s[60:61]                 // 0000000060D0: D1000038 00F2719F
	v_cndmask_b32_e64 v57, v159, v57, s[60:61]                 // 0000000060D8: D1000039 00F2739F
	v_cndmask_b32_e64 v58, v159, v58, s[60:61]                 // 0000000060E0: D100003A 00F2759F
	v_cndmask_b32_e64 v59, v159, v59, s[60:61]                 // 0000000060E8: D100003B 00F2779F

00000000000060f0 <label_08BC>:
	s_addk_i32 s74, 0x1                                        // 0000000060F0: B74A0001
	s_waitcnt lgkmcnt(6)                                       // 0000000060F4: BF8CC67F
	s_barrier                                                  // 0000000060F8: BF8A0000
	v_mfma_f32_16x16x16_f16 v[64:67], v[80:81], a[48:49], 0    // 0000000060FC: D3CD0040 12026150
	ds_read_b128 a[72:75], v12 offset:6528                     // 000000006104: DBFE1980 4800000C
	ds_read_b128 a[76:79], v12 offset:7040                     // 00000000610C: DBFE1B80 4C00000C
	ds_write_b32 v11, v32                                      // 000000006114: D81A0000 0000200B
	ds_write_b32 v11, v33 offset:1056                          // 00000000611C: D81A0420 0000210B
	v_mfma_f32_16x16x16_f16 v[64:67], v[82:83], a[50:51], v[64:67]// 000000006124: D3CD0040 15026552
	v_fma_f32 v56, v56, s57, -v128                             // 00000000612C: D1CB0038 86007338
	v_fma_f32 v57, v57, s57, -v129                             // 000000006134: D1CB0039 86047339
	v_fma_f32 v58, v58, s57, -v130                             // 00000000613C: D1CB003A 8608733A
	v_fma_f32 v59, v59, s57, -v131                             // 000000006144: D1CB003B 860C733B
	v_mfma_f32_16x16x16_f16 v[64:67], v[84:85], a[52:53], v[64:67]// 00000000614C: D3CD0040 15026954
	ds_read_b128 a[80:83], v12 offset:8704                     // 000000006154: DBFE2200 5000000C
	ds_read_b128 a[84:87], v12 offset:9216                     // 00000000615C: DBFE2400 5400000C
	ds_write_b32 v11, v34 offset:2176                          // 000000006164: D81A0880 0000220B
	v_mfma_f32_16x16x16_f16 v[64:67], v[86:87], a[54:55], v[64:67]// 00000000616C: D3CD0040 15026D56
	v_exp_f32_e32 v56, v56                                     // 000000006174: 7E704138
	v_mfma_f32_16x16x16_f16 v[64:67], v[88:89], a[56:57], v[64:67]// 000000006178: D3CD0040 15027158
	ds_read_b128 a[88:91], v12 offset:10880                    // 000000006180: DBFE2A80 5800000C
	ds_read_b128 a[92:95], v12 offset:11392                    // 000000006188: DBFE2C80 5C00000C
	ds_write_b32 v11, v35 offset:3232                          // 000000006190: D81A0CA0 0000230B
	v_mfma_f32_16x16x16_f16 v[64:67], v[90:91], a[58:59], v[64:67]// 000000006198: D3CD0040 1502755A
	v_exp_f32_e32 v57, v57                                     // 0000000061A0: 7E724139
	v_mfma_f32_16x16x16_f16 v[64:67], v[92:93], a[60:61], v[64:67]// 0000000061A4: D3CD0040 1502795C
	ds_read_b64 v[144:145], v19 offset:28416                   // 0000000061AC: D8EC6F00 90000013
	ds_read_b64 v[146:147], v19 offset:30464                   // 0000000061B4: D8EC7700 92000013
	ds_read_b64 v[148:149], v19 offset:32512                   // 0000000061BC: D8EC7F00 94000013
	ds_write_b32 v11, v36 offset:4352                          // 0000000061C4: D81A1100 0000240B
	v_mfma_f32_16x16x16_f16 v[64:67], v[94:95], a[62:63], v[64:67]// 0000000061CC: D3CD0040 15027D5E
	v_exp_f32_e32 v58, v58                                     // 0000000061D4: 7E74413A
	v_mfma_f32_16x16x16_f16 v[64:67], v[96:97], a[64:65], v[64:67]// 0000000061D8: D3CD0040 15028160
	ds_read_b64 v[150:151], v19 offset:34560                   // 0000000061E0: D8EC8700 96000013
	ds_read_b64 v[152:153], v19 offset:36608                   // 0000000061E8: D8EC8F00 98000013
	ds_read_b64 v[154:155], v19 offset:38656                   // 0000000061F0: D8EC9700 9A000013
	ds_write_b32 v11, v37 offset:5408                          // 0000000061F8: D81A1520 0000250B
	v_mfma_f32_16x16x16_f16 v[64:67], v[98:99], a[66:67], v[64:67]// 000000006200: D3CD0040 15028562
	v_exp_f32_e32 v59, v59                                     // 000000006208: 7E76413B
	v_mfma_f32_16x16x16_f16 v[64:67], v[100:101], a[68:69], v[64:67]// 00000000620C: D3CD0040 15028964
	v_cvt_pkrtz_f16_f32 v156, v56, v57                         // 000000006214: D296009C 00027338
	v_mfma_f32_16x16x16_f16 v[64:67], v[102:103], a[70:71], v[64:67]// 00000000621C: D3CD0040 15028D66
	v_cvt_pkrtz_f16_f32 v157, v58, v59                         // 000000006224: D296009D 0002773A
	v_add_u32_e32 v7, s66, v7                                  // 00000000622C: 680E0E42
	v_add_u32_e32 v8, s66, v8                                  // 000000006230: 68101042
	s_waitcnt lgkmcnt(0)                                       // 000000006234: BF8CC07F
	s_barrier                                                  // 000000006238: BF8A0000
	v_mfma_f32_16x16x16_f16 v[160:163], v[104:105], v[156:157], v[160:163]// 00000000623C: D3CD00A0 06833968
	v_subrev_f32_dpp v64, v158, v64 quad_perm:[0,0,0,0] row_mask:0xf bank_mask:0xf// 000000006244: 068080FA FF00009E
	v_subrev_f32_dpp v65, v158, v65 quad_perm:[1,1,1,1] row_mask:0xf bank_mask:0xf// 00000000624C: 068282FA FF00559E
	buffer_atomic_add_f32 v144, v7, s[32:35], 0 offen          // 000000006254: E1341000 80089007
	v_mfma_f32_16x16x16_f16 v[164:167], v[106:107], v[156:157], v[164:167]// 00000000625C: D3CD00A4 0693396A
	v_subrev_f32_dpp v66, v158, v66 quad_perm:[2,2,2,2] row_mask:0xf bank_mask:0xf// 000000006264: 068484FA FF00AA9E
	v_subrev_f32_dpp v67, v158, v67 quad_perm:[3,3,3,3] row_mask:0xf bank_mask:0xf// 00000000626C: 068686FA FF00FF9E
	buffer_atomic_add_f32 v145, v8, s[32:35], 0 offen          // 000000006274: E1341000 80089108
	v_mfma_f32_16x16x16_f16 v[168:171], v[108:109], v[156:157], v[168:171]// 00000000627C: D3CD00A8 06A3396C
	v_mul_f32_e32 v64, v56, v64                                // 000000006284: 0A808138
	v_mul_f32_e32 v65, v57, v65                                // 000000006288: 0A828339
	buffer_atomic_add_f32 v146, v7, s[32:35], 0 offen offset:128// 00000000628C: E1341080 80089207
	v_mfma_f32_16x16x16_f16 v[172:175], v[110:111], v[156:157], v[172:175]// 000000006294: D3CD00AC 06B3396E
	v_mul_f32_e32 v66, v58, v66                                // 00000000629C: 0A84853A
	v_mul_f32_e32 v67, v59, v67                                // 0000000062A0: 0A86873B
	buffer_atomic_add_f32 v147, v8, s[32:35], 0 offen offset:128// 0000000062A4: E1341080 80089308
	v_mfma_f32_16x16x16_f16 v[176:179], v[112:113], v[156:157], v[176:179]// 0000000062AC: D3CD00B0 06C33970
	v_cvt_pkrtz_f16_f32 v64, v64, v65                          // 0000000062B4: D2960040 00028340
	v_mfma_f32_16x16x16_f16 v[180:183], v[114:115], v[156:157], v[180:183]// 0000000062BC: D3CD00B4 06D33972
	v_cvt_pkrtz_f16_f32 v65, v66, v67                          // 0000000062C4: D2960041 00028742
	v_mfma_f32_16x16x16_f16 v[184:187], v[116:117], v[156:157], v[184:187]// 0000000062CC: D3CD00B8 06E33974
	v_mov_b32_dpp v16, v64 quad_perm:[1,0,3,2] row_mask:0xf bank_mask:0xf// 0000000062D4: 7E2002FA FF00B140
	v_perm_b32 v56, v16, v64, v15                              // 0000000062DC: D1ED0038 043E8110
	buffer_atomic_add_f32 v148, v7, s[32:35], 0 offen offset:256// 0000000062E4: E1341100 80089407
	v_mfma_f32_16x16x16_f16 v[188:191], v[118:119], v[156:157], v[188:191]// 0000000062EC: D3CD00BC 06F33976
	v_mov_b32_dpp v16, v65 quad_perm:[1,0,3,2] row_mask:0xf bank_mask:0xf// 0000000062F4: 7E2002FA FF00B141
	v_perm_b32 v57, v16, v65, v15                              // 0000000062FC: D1ED0039 043E8310
	buffer_atomic_add_f32 v149, v8, s[32:35], 0 offen offset:256// 000000006304: E1341100 80089508
	v_mfma_f32_16x16x16_f16 v[192:195], v[120:121], v[156:157], v[192:195]// 00000000630C: D3CD00C0 07033978
	ds_write_b32 v13, v68 offset:6528                          // 000000006314: D81A1980 0000440D
	ds_write_b32 v13, v69 offset:7584                          // 00000000631C: D81A1DA0 0000450D
	v_mfma_f32_16x16x16_f16 v[196:199], v[122:123], v[156:157], v[196:199]// 000000006324: D3CD00C4 0713397A
	ds_write_b32 v18, v56 offset:26112                         // 00000000632C: D81A6600 00003812
	ds_write_b32 v18, v57 offset:26656                         // 000000006334: D81A6820 00003912
	v_mfma_f32_16x16x16_f16 v[200:203], v[124:125], v[156:157], v[200:203]// 00000000633C: D3CD00C8 0723397C
	ds_write_b32 v13, v70 offset:8704                          // 000000006344: D81A2200 0000460D
	ds_write_b32 v13, v71 offset:9760                          // 00000000634C: D81A2620 0000470D
	v_mfma_f32_16x16x16_f16 v[204:207], v[126:127], v[156:157], v[204:207]// 000000006354: D3CD00CC 0733397E
	ds_write_b32 v13, v72 offset:10880                         // 00000000635C: D81A2A80 0000480D
	ds_write_b32 v13, v73 offset:11936                         // 000000006364: D81A2EA0 0000490D
	s_barrier                                                  // 00000000636C: BF8A0000
	v_mfma_f32_16x16x16_f16 a[96:99], a[72:73], v[64:65], a[96:99]// 000000006370: D3CD8060 0D828148
	buffer_atomic_add_f32 v150, v7, s[32:35], 0 offen offset:384// 000000006378: E1341180 80089607
	buffer_atomic_add_f32 v151, v8, s[32:35], 0 offen offset:384// 000000006380: E1341180 80089708
	v_mfma_f32_16x16x16_f16 a[100:103], a[74:75], v[64:65], a[100:103]// 000000006388: D3CD8064 0D92814A
	ds_read_b32 v128, v21 offset:40704                         // 000000006390: D86C9F00 80000015
	ds_read_b32 v158, v21 offset:40960                         // 000000006398: D86CA000 9E000015
	v_mfma_f32_16x16x16_f16 a[104:107], a[76:77], v[64:65], a[104:107]// 0000000063A0: D3CD8068 0DA2814C
	s_waitcnt lgkmcnt(6)                                       // 0000000063A8: BF8CC67F
	s_barrier                                                  // 0000000063AC: BF8A0000
	v_mfma_f32_16x16x16_f16 a[108:111], a[78:79], v[64:65], a[108:111]// 0000000063B0: D3CD806C 0DB2814E
	ds_read_b128 v[56:59], v17 offset:26112                    // 0000000063B8: D9FE6600 38000011
	v_mfma_f32_16x16x16_f16 a[112:115], a[80:81], v[64:65], a[112:115]// 0000000063C0: D3CD8070 0DC28150
	s_mov_b64 exec, s[92:93]                                   // 0000000063C8: BEFE015C
	buffer_atomic_add_f32 v152, v7, s[32:35], 0 offen offset:512// 0000000063CC: E1341200 80089807
	s_mov_b32 exec_lo, -1                                      // 0000000063D4: BEFE00C1
	s_mov_b32 exec_hi, -1                                      // 0000000063D8: BEFF00C1
	v_mfma_f32_16x16x16_f16 a[116:119], a[82:83], v[64:65], a[116:119]// 0000000063DC: D3CD8074 0DD28152
	ds_read_b128 v[60:63], v17 offset:27264                    // 0000000063E4: D9FE6A80 3C000011
	v_mfma_f32_16x16x16_f16 a[120:123], a[84:85], v[64:65], a[120:123]// 0000000063EC: D3CD8078 0DE28154
	s_mov_b64 exec, s[92:93]                                   // 0000000063F4: BEFE015C
	buffer_atomic_add_f32 v153, v8, s[32:35], 0 offen offset:512// 0000000063F8: E1341200 80089908
	s_mov_b32 exec_lo, -1                                      // 000000006400: BEFE00C1
	s_mov_b32 exec_hi, -1                                      // 000000006404: BEFF00C1
	v_mfma_f32_16x16x16_f16 a[124:127], a[86:87], v[64:65], a[124:127]// 000000006408: D3CD807C 0DF28156
	ds_write_b32 v13, v74 offset:19584                         // 000000006410: D81A4C80 00004A0D
	ds_write_b32 v13, v75 offset:20640                         // 000000006418: D81A50A0 00004B0D
	v_mfma_f32_16x16x16_f16 a[128:131], a[88:89], v[64:65], a[128:131]// 000000006420: D3CD8080 0E028158
	s_mov_b64 exec, s[94:95]                                   // 000000006428: BEFE015E
	buffer_atomic_add_f32 v154, v7, s[32:35], 0 offen offset:640// 00000000642C: E1341280 80089A07
	s_mov_b32 exec_lo, -1                                      // 000000006434: BEFE00C1
	s_mov_b32 exec_hi, -1                                      // 000000006438: BEFF00C1
	v_mfma_f32_16x16x16_f16 a[132:135], a[90:91], v[64:65], a[132:135]// 00000000643C: D3CD8084 0E12815A
	ds_write_b32 v13, v76 offset:21760                         // 000000006444: D81A5500 00004C0D
	ds_write_b32 v13, v77 offset:22816                         // 00000000644C: D81A5920 00004D0D
	v_mfma_f32_16x16x16_f16 a[136:139], a[92:93], v[64:65], a[136:139]// 000000006454: D3CD8088 0E22815C
	s_mov_b64 exec, s[94:95]                                   // 00000000645C: BEFE015E
	buffer_atomic_add_f32 v155, v8, s[32:35], 0 offen offset:640// 000000006460: E1341280 80089B08
	s_mov_b32 exec_lo, -1                                      // 000000006468: BEFE00C1
	s_mov_b32 exec_hi, -1                                      // 00000000646C: BEFF00C1
	v_mfma_f32_16x16x16_f16 a[140:143], a[94:95], v[64:65], a[140:143]// 000000006470: D3CD808C 0E32815E
	ds_write_b32 v13, v78 offset:23936                         // 000000006478: D81A5D80 00004E0D
	ds_write_b32 v13, v79 offset:24992                         // 000000006480: D81A61A0 00004F0D
	s_waitcnt vmcnt(12) lgkmcnt(6)                             // 000000006488: BF8C067C
	s_barrier                                                  // 00000000648C: BF8A0000
	v_mfma_f32_16x16x16_f16 v[132:135], v[56:57], a[24:25], 0  // 000000006490: D3CD0084 12023138
	v_mul_f32_e32 v128, s48, v128                              // 000000006498: 0B010030
	v_perm_b32 v68, v39, v38, s63                              // 00000000649C: D1ED0044 00FE4D27
	v_perm_b32 v69, v39, v38, s64                              // 0000000064A4: D1ED0045 01024D27
	v_perm_b32 v70, v41, v40, s63                              // 0000000064AC: D1ED0046 00FE5129
	v_mfma_f32_16x16x16_f16 v[132:135], v[58:59], a[30:31], v[132:135]// 0000000064B4: D3CD0084 16123D3A
	ds_read_b128 a[72:75], v10                                 // 0000000064BC: DBFE0000 4800000A
	ds_read_b128 a[76:79], v10 offset:512                      // 0000000064C4: DBFE0200 4C00000A
	ds_read_b128 a[80:83], v10 offset:2176                     // 0000000064CC: DBFE0880 5000000A
	buffer_load_dword v32, v1, s[8:11], 0 idxen                // 0000000064D4: E0502000 80022001
	buffer_load_dword v33, v2, s[8:11], 0 idxen                // 0000000064DC: E0502000 80022102
	v_mfma_f32_16x16x16_f16 v[132:135], v[60:61], a[36:37], v[132:135]// 0000000064E4: D3CD0084 1612493C
	v_perm_b32 v71, v41, v40, s64                              // 0000000064EC: D1ED0047 01025129
	v_perm_b32 v72, v43, v42, s63                              // 0000000064F4: D1ED0048 00FE552B
	v_perm_b32 v73, v43, v42, s64                              // 0000000064FC: D1ED0049 0102552B
	v_mfma_f32_16x16x16_f16 v[132:135], v[62:63], a[42:43], v[132:135]// 000000006504: D3CD0084 1612553E
	ds_read_b128 a[84:87], v10 offset:2688                     // 00000000650C: DBFE0A80 5400000A
	ds_read_b128 a[88:91], v10 offset:4352                     // 000000006514: DBFE1100 5800000A
	ds_read_b128 a[92:95], v10 offset:4864                     // 00000000651C: DBFE1300 5C00000A
	buffer_load_dword v34, v1, s[8:11], 0 idxen offset:128     // 000000006524: E0502080 80022201
	buffer_load_dword v35, v2, s[8:11], 0 idxen offset:128     // 00000000652C: E0502080 80022302
	v_mfma_f32_16x16x16_f16 v[136:139], v[56:57], a[26:27], 0  // 000000006534: D3CD0088 12023538
	v_perm_b32 v74, v51, v50, s63                              // 00000000653C: D1ED004A 00FE6533
	v_perm_b32 v75, v51, v50, s64                              // 000000006544: D1ED004B 01026533
	v_perm_b32 v76, v53, v52, s63                              // 00000000654C: D1ED004C 00FE6935
	v_mov_b32_dpp v131, v128 quad_perm:[3,3,3,3] row_mask:0xf bank_mask:0xf// 000000006554: 7F0602FA FF00FF80
	v_mov_b32_dpp v130, v128 quad_perm:[2,2,2,2] row_mask:0xf bank_mask:0xf// 00000000655C: 7F0402FA FF00AA80
	v_mfma_f32_16x16x16_f16 v[136:139], v[58:59], a[32:33], v[136:139]// 000000006564: D3CD0088 1622413A
	ds_read_b128 v[80:83], v10 offset:13056                    // 00000000656C: D9FE3300 5000000A
	ds_read_b128 v[84:87], v10 offset:13568                    // 000000006574: D9FE3500 5400000A
	ds_read_b128 v[88:91], v10 offset:15232                    // 00000000657C: D9FE3B80 5800000A
	buffer_load_dword v44, v208, s[20:23], 0 idxen             // 000000006584: E0502000 80052CD0
	buffer_load_dword v45, v209, s[20:23], 0 idxen             // 00000000658C: E0502000 80052DD1
	v_mfma_f32_16x16x16_f16 v[136:139], v[60:61], a[38:39], v[136:139]// 000000006594: D3CD0088 16224D3C
	v_perm_b32 v77, v53, v52, s64                              // 00000000659C: D1ED004D 01026935
	v_perm_b32 v78, v55, v54, s63                              // 0000000065A4: D1ED004E 00FE6D37
	v_perm_b32 v79, v55, v54, s64                              // 0000000065AC: D1ED004F 01026D37
	v_mov_b32_dpp v129, v128 quad_perm:[1,1,1,1] row_mask:0xf bank_mask:0xf// 0000000065B4: 7F0202FA FF005580
	v_mov_b32_dpp v128, v128 quad_perm:[0,0,0,0] row_mask:0xf bank_mask:0xf// 0000000065BC: 7F0002FA FF000080
	v_mfma_f32_16x16x16_f16 v[136:139], v[62:63], a[44:45], v[136:139]// 0000000065C4: D3CD0088 1622593E
	ds_read_b128 v[92:95], v10 offset:15744                    // 0000000065CC: D9FE3D80 5C00000A
	ds_read_b128 v[96:99], v10 offset:17408                    // 0000000065D4: D9FE4400 6000000A
	ds_read_b128 v[100:103], v10 offset:17920                  // 0000000065DC: D9FE4600 6400000A
	buffer_load_dword v46, v208, s[20:23], 0 idxen offset:128  // 0000000065E4: E0502080 80052ED0
	buffer_load_dword v47, v209, s[20:23], 0 idxen offset:128  // 0000000065EC: E0502080 80052FD1
	v_mfma_f32_16x16x16_f16 v[140:143], v[56:57], a[28:29], 0  // 0000000065F4: D3CD008C 12023938
	s_add_u32 s60, 64, s59                                     // 0000000065FC: 803C3BC0
	s_cmp_lt_u32 s60, s58                                      // 000000006600: BF0A3A3C
	s_cselect_b32 s68, s68, 0                                  // 000000006604: 85448044
	s_cselect_b32 s97, s97, 0                                  // 000000006608: 85618061
	s_cselect_b32 s69, s69, 0                                  // 00000000660C: 85458045
	v_mfma_f32_16x16x16_f16 v[140:143], v[58:59], a[34:35], v[140:143]// 000000006610: D3CD008C 1632453A
	buffer_load_dword v9, s[24:27], 0 idxen lds                // 000000006618: E0512000 80060009
	v_mov_b32_e32 v36, 0                                       // 000000006620: 7E480280
	s_mov_b64 exec, s[88:89]                                   // 000000006624: BEFE0158
	buffer_load_dword v36, v1, s[8:11], 0 idxen offset:256     // 000000006628: E0502100 80022401
	s_mov_b32 exec_lo, -1                                      // 000000006630: BEFE00C1
	s_mov_b32 exec_hi, -1                                      // 000000006634: BEFF00C1
	v_mov_b32_e32 v37, 0                                       // 000000006638: 7E4A0280
	s_mov_b64 exec, s[88:89]                                   // 00000000663C: BEFE0158
	buffer_load_dword v37, v2, s[8:11], 0 idxen offset:256     // 000000006640: E0502100 80022502
	s_mov_b32 exec_lo, -1                                      // 000000006648: BEFE00C1
	s_mov_b32 exec_hi, -1                                      // 00000000664C: BEFF00C1
	v_mfma_f32_16x16x16_f16 v[140:143], v[60:61], a[40:41], v[140:143]// 000000006650: D3CD008C 1632513C
	v_mov_b32_e32 v48, 0                                       // 000000006658: 7E600280
	s_mov_b64 exec, s[88:89]                                   // 00000000665C: BEFE0158
	buffer_load_dword v48, v208, s[20:23], 0 idxen offset:256  // 000000006660: E0502100 800530D0
	s_mov_b32 exec_lo, -1                                      // 000000006668: BEFE00C1
	s_mov_b32 exec_hi, -1                                      // 00000000666C: BEFF00C1
	v_mov_b32_e32 v49, 0                                       // 000000006670: 7E620280
	s_mov_b64 exec, s[88:89]                                   // 000000006674: BEFE0158
	buffer_load_dword v49, v209, s[20:23], 0 idxen offset:256  // 000000006678: E0502100 800531D1
	s_mov_b32 exec_lo, -1                                      // 000000006680: BEFE00C1
	s_mov_b32 exec_hi, -1                                      // 000000006684: BEFF00C1
	v_add_u32_e32 v1, s68, v1                                  // 000000006688: 68020244
	v_add_u32_e32 v2, s68, v2                                  // 00000000668C: 68040444
	v_add_u32_e32 v208, s97, v208                              // 000000006690: 69A1A061
	v_add_u32_e32 v209, s97, v209                              // 000000006694: 69A3A261
	s_mov_b32 m0, s79                                          // 000000006698: BEFC004F
	v_add_u32_e32 v9, s69, v9                                  // 00000000669C: 68121245
	v_mfma_f32_16x16x16_f16 v[140:143], v[62:63], a[46:47], v[140:143]// 0000000066A0: D3CD008C 16325D3E
	s_cmp_ge_u32 s59, s73                                      // 0000000066A8: BF09493B
	s_cselect_b32 s66, s67, s66                                // 0000000066AC: 85424243
	s_addk_i32 s59, 0x10                                       // 0000000066B0: B73B0010
	s_nop 0                                                    // 0000000066B4: BF800000
	s_cmp_lt_i32 s59, s58                                      // 0000000066B8: BF043A3B
	s_cbranch_scc0 label_0A31                                  // 0000000066BC: BF840001
	s_branch label_063A                                        // 0000000066C0: BF82FC09

00000000000066c4 <label_0A31>:
	s_nop 0                                                    // 0000000066C4: BF800000
	s_nop 0                                                    // 0000000066C8: BF800000
	s_nop 0                                                    // 0000000066CC: BF800000
	s_nop 0                                                    // 0000000066D0: BF800000
	s_nop 0                                                    // 0000000066D4: BF800000
	s_nop 0                                                    // 0000000066D8: BF800000
	s_branch label_0E2F                                        // 0000000066DC: BF8203F7

00000000000066e0 <label_0A38>:
	s_waitcnt lgkmcnt(0)                                       // 0000000066E0: BF8CC07F
	s_barrier                                                  // 0000000066E4: BF8A0000
	v_mfma_f32_16x16x16_f16 v[56:59], a[72:73], a[0:1], 0      // 0000000066E8: D3CD0038 1A020148
	v_mul_f32_e32 v132, s47, v132                              // 0000000066F0: 0B09082F
	v_mul_f32_e32 v133, s47, v133                              // 0000000066F4: 0B0B0A2F
	v_mul_f32_e32 v134, s47, v134                              // 0000000066F8: 0B0D0C2F
	v_mul_f32_e32 v135, s47, v135                              // 0000000066FC: 0B0F0E2F
	v_mfma_f32_16x16x16_f16 v[56:59], a[74:75], a[2:3], v[56:59]// 000000006700: D3CD0038 1CE2054A
	ds_write_b32 v11, v50 offset:13056                         // 000000006708: D81A3300 0000320B
	ds_write_b32 v11, v51 offset:14112                         // 000000006710: D81A3720 0000330B
	ds_write_b32 v11, v52 offset:15232                         // 000000006718: D81A3B80 0000340B
	v_mfma_f32_16x16x16_f16 v[56:59], a[76:77], a[4:5], v[56:59]// 000000006720: D3CD0038 1CE2094C
	v_mul_f32_e32 v136, s47, v136                              // 000000006728: 0B11102F
	v_mul_f32_e32 v137, s47, v137                              // 00000000672C: 0B13122F
	v_mul_f32_e32 v138, s47, v138                              // 000000006730: 0B15142F
	v_mul_f32_e32 v139, s47, v139                              // 000000006734: 0B17162F
	v_mfma_f32_16x16x16_f16 v[56:59], a[78:79], a[6:7], v[56:59]// 000000006738: D3CD0038 1CE20D4E
	ds_write_b32 v11, v53 offset:16288                         // 000000006740: D81A3FA0 0000350B
	ds_write_b32 v11, v54 offset:17408                         // 000000006748: D81A4400 0000360B
	ds_write_b32 v11, v55 offset:18464                         // 000000006750: D81A4820 0000370B
	v_mfma_f32_16x16x16_f16 v[56:59], a[80:81], a[8:9], v[56:59]// 000000006758: D3CD0038 1CE21150
	v_mul_f32_e32 v140, s47, v140                              // 000000006760: 0B19182F
	v_mul_f32_e32 v141, s47, v141                              // 000000006764: 0B1B1A2F
	v_mul_f32_e32 v142, s47, v142                              // 000000006768: 0B1D1C2F
	v_mul_f32_e32 v143, s47, v143                              // 00000000676C: 0B1F1E2F
	v_mfma_f32_16x16x16_f16 v[56:59], a[82:83], a[10:11], v[56:59]// 000000006770: D3CD0038 1CE21552
	ds_write_b64 v20, v[132:133] offset:28416                  // 000000006778: D89A6F00 00008414
	ds_write_b64 v20, v[134:135] offset:28928                  // 000000006780: D89A7100 00008614
	v_mfma_f32_16x16x16_f16 v[56:59], a[84:85], a[12:13], v[56:59]// 000000006788: D3CD0038 1CE21954
	ds_write_b64 v20, v[136:137] offset:29440                  // 000000006790: D89A7300 00008814
	ds_write_b64 v20, v[138:139] offset:29952                  // 000000006798: D89A7500 00008A14
	v_mfma_f32_16x16x16_f16 v[56:59], a[86:87], a[14:15], v[56:59]// 0000000067A0: D3CD0038 1CE21D56
	ds_write_b64 v20, v[140:141] offset:30464                  // 0000000067A8: D89A7700 00008C14
	ds_write_b64 v20, v[142:143] offset:30976                  // 0000000067B0: D89A7900 00008E14
	v_mfma_f32_16x16x16_f16 v[56:59], a[88:89], a[16:17], v[56:59]// 0000000067B8: D3CD0038 1CE22158
	ds_read_b128 v[104:107], v12 offset:19584                  // 0000000067C0: D9FE4C80 6800000C
	v_mfma_f32_16x16x16_f16 v[56:59], a[90:91], a[18:19], v[56:59]// 0000000067C8: D3CD0038 1CE2255A
	ds_read_b128 v[108:111], v12 offset:20096                  // 0000000067D0: D9FE4E80 6C00000C
	v_mfma_f32_16x16x16_f16 v[56:59], a[92:93], a[20:21], v[56:59]// 0000000067D8: D3CD0038 1CE2295C
	ds_read_b128 v[112:115], v12 offset:21760                  // 0000000067E0: D9FE5500 7000000C
	ds_read_b128 v[116:119], v12 offset:22272                  // 0000000067E8: D9FE5700 7400000C
	v_mfma_f32_16x16x16_f16 v[56:59], a[94:95], a[22:23], v[56:59]// 0000000067F0: D3CD0038 1CE22D5E
	ds_read_b128 v[120:123], v12 offset:23936                  // 0000000067F8: D9FE5D80 7800000C
	ds_read_b128 v[124:127], v12 offset:24448                  // 000000006800: D9FE5F80 7C00000C
	s_cmp_lt_i32 s74, 4                                        // 000000006808: BF04844A
	s_cbranch_scc0 label_0AAE                                  // 00000000680C: BF84002A
	s_mov_b32 s60, 0xffe0fffe                                  // 000000006810: BEBC00FF FFE0FFFE
	s_mov_b32 s61, 0xe000fe00                                  // 000000006818: BEBD00FF E000FE00
	s_nop 0                                                    // 000000006820: BF800000
	s_cmp_lt_i32 s74, s46                                      // 000000006824: BF042E4A
	s_cbranch_scc1 label_0AA9                                  // 000000006828: BF85001E
	s_cmp_eq_i32 s74, s46                                      // 00000000682C: BF002E4A
	s_cbranch_scc1 label_0A8E                                  // 000000006830: BF850001
	s_branch label_0AAE                                        // 000000006834: BF820020

0000000000006838 <label_0A8E>:
	v_cndmask_b32_e64 v56, v56, v159, s[60:61]                 // 000000006838: D1000038 00F33F38
	s_lshl_b32 s60, s60, 1                                     // 000000006840: 8E3C813C
	s_lshl_b32 s61, s61, 1                                     // 000000006844: 8E3D813D
	s_and_b32 s60, 0xfffeffff, s60                             // 000000006848: 863C3CFF FFFEFFFF
	s_and_b32 s61, 0xfffeffff, s61                             // 000000006850: 863D3DFF FFFEFFFF
	v_cndmask_b32_e64 v57, v57, v159, s[60:61]                 // 000000006858: D1000039 00F33F39
	s_lshl_b32 s60, s60, 1                                     // 000000006860: 8E3C813C
	s_lshl_b32 s61, s61, 1                                     // 000000006864: 8E3D813D
	s_and_b32 s60, 0xfffeffff, s60                             // 000000006868: 863C3CFF FFFEFFFF
	s_and_b32 s61, 0xfffeffff, s61                             // 000000006870: 863D3DFF FFFEFFFF
	v_cndmask_b32_e64 v58, v58, v159, s[60:61]                 // 000000006878: D100003A 00F33F3A
	s_lshl_b32 s60, s60, 1                                     // 000000006880: 8E3C813C
	s_lshl_b32 s61, s61, 1                                     // 000000006884: 8E3D813D
	s_and_b32 s60, 0xfffeffff, s60                             // 000000006888: 863C3CFF FFFEFFFF
	s_and_b32 s61, 0xfffeffff, s61                             // 000000006890: 863D3DFF FFFEFFFF
	v_cndmask_b32_e64 v59, v59, v159, s[60:61]                 // 000000006898: D100003B 00F33F3B
	s_branch label_0AAE                                        // 0000000068A0: BF820005

00000000000068a4 <label_0AA9>:
	v_mov_b32_e32 v56, v159                                    // 0000000068A4: 7E70039F
	v_mov_b32_e32 v57, v159                                    // 0000000068A8: 7E72039F
	v_mov_b32_e32 v58, v159                                    // 0000000068AC: 7E74039F
	v_mov_b32_e32 v59, v159                                    // 0000000068B0: 7E76039F
	s_branch label_0AAE                                        // 0000000068B4: BF820000

00000000000068b8 <label_0AAE>:
	s_cmp_lt_i32 s98, 64                                       // 0000000068B8: BF04C062
	s_cbranch_scc0 label_0ABF                                  // 0000000068BC: BF84000F
	v_and_b32_e32 v28, 15, v0                                  // 0000000068C0: 2638008F
	v_mul_i32_i24_e64 v29, s46, 16                             // 0000000068C4: D106001D 0001202E
	v_add_u32_e32 v28, v28, v29                                // 0000000068CC: 68383B1C
	v_cmp_lt_u32_e64 s[60:61], v28, s98                        // 0000000068D0: D0C9003C 0000C51C
	s_nop 1                                                    // 0000000068D8: BF800001
	v_cndmask_b32_e64 v56, v159, v56, s[60:61]                 // 0000000068DC: D1000038 00F2719F
	v_cndmask_b32_e64 v57, v159, v57, s[60:61]                 // 0000000068E4: D1000039 00F2739F
	v_cndmask_b32_e64 v58, v159, v58, s[60:61]                 // 0000000068EC: D100003A 00F2759F
	v_cndmask_b32_e64 v59, v159, v59, s[60:61]                 // 0000000068F4: D100003B 00F2779F

00000000000068fc <label_0ABF>:
	s_addk_i32 s74, 0x1                                        // 0000000068FC: B74A0001
	s_waitcnt lgkmcnt(6)                                       // 000000006900: BF8CC67F
	s_barrier                                                  // 000000006904: BF8A0000
	v_mfma_f32_16x16x16_f16 v[64:67], v[80:81], a[48:49], 0    // 000000006908: D3CD0040 12026150
	v_fma_f32 v56, v56, s57, -v128                             // 000000006910: D1CB0038 86007338
	v_fma_f32 v57, v57, s57, -v129                             // 000000006918: D1CB0039 86047339
	v_fma_f32 v58, v58, s57, -v130                             // 000000006920: D1CB003A 8608733A
	v_fma_f32 v59, v59, s57, -v131                             // 000000006928: D1CB003B 860C733B
	v_mfma_f32_16x16x16_f16 v[64:67], v[82:83], a[50:51], v[64:67]// 000000006930: D3CD0040 15026552
	ds_read_b128 a[72:75], v12 offset:6528                     // 000000006938: DBFE1980 4800000C
	ds_read_b128 a[76:79], v12 offset:7040                     // 000000006940: DBFE1B80 4C00000C
	ds_write_b32 v11, v38                                      // 000000006948: D81A0000 0000260B
	ds_write_b32 v11, v39 offset:1056                          // 000000006950: D81A0420 0000270B
	v_mfma_f32_16x16x16_f16 v[64:67], v[84:85], a[52:53], v[64:67]// 000000006958: D3CD0040 15026954
	v_exp_f32_e32 v56, v56                                     // 000000006960: 7E704138
	v_mfma_f32_16x16x16_f16 v[64:67], v[86:87], a[54:55], v[64:67]// 000000006964: D3CD0040 15026D56
	ds_read_b128 a[80:83], v12 offset:8704                     // 00000000696C: DBFE2200 5000000C
	ds_read_b128 a[84:87], v12 offset:9216                     // 000000006974: DBFE2400 5400000C
	ds_write_b32 v11, v40 offset:2176                          // 00000000697C: D81A0880 0000280B
	v_mfma_f32_16x16x16_f16 v[64:67], v[88:89], a[56:57], v[64:67]// 000000006984: D3CD0040 15027158
	v_exp_f32_e32 v57, v57                                     // 00000000698C: 7E724139
	v_mfma_f32_16x16x16_f16 v[64:67], v[90:91], a[58:59], v[64:67]// 000000006990: D3CD0040 1502755A
	ds_read_b128 a[88:91], v12 offset:10880                    // 000000006998: DBFE2A80 5800000C
	ds_read_b128 a[92:95], v12 offset:11392                    // 0000000069A0: DBFE2C80 5C00000C
	ds_write_b32 v11, v41 offset:3232                          // 0000000069A8: D81A0CA0 0000290B
	v_mfma_f32_16x16x16_f16 v[64:67], v[92:93], a[60:61], v[64:67]// 0000000069B0: D3CD0040 1502795C
	v_exp_f32_e32 v58, v58                                     // 0000000069B8: 7E74413A
	v_mfma_f32_16x16x16_f16 v[64:67], v[94:95], a[62:63], v[64:67]// 0000000069BC: D3CD0040 15027D5E
	ds_read_b64 v[144:145], v19 offset:28416                   // 0000000069C4: D8EC6F00 90000013
	ds_read_b64 v[146:147], v19 offset:30464                   // 0000000069CC: D8EC7700 92000013
	ds_read_b64 v[148:149], v19 offset:32512                   // 0000000069D4: D8EC7F00 94000013
	ds_write_b32 v11, v42 offset:4352                          // 0000000069DC: D81A1100 00002A0B
	v_mfma_f32_16x16x16_f16 v[64:67], v[96:97], a[64:65], v[64:67]// 0000000069E4: D3CD0040 15028160
	v_exp_f32_e32 v59, v59                                     // 0000000069EC: 7E76413B
	v_mfma_f32_16x16x16_f16 v[64:67], v[98:99], a[66:67], v[64:67]// 0000000069F0: D3CD0040 15028562
	ds_read_b64 v[150:151], v19 offset:34560                   // 0000000069F8: D8EC8700 96000013
	ds_read_b64 v[152:153], v19 offset:36608                   // 000000006A00: D8EC8F00 98000013
	ds_read_b64 v[154:155], v19 offset:38656                   // 000000006A08: D8EC9700 9A000013
	ds_write_b32 v11, v43 offset:5408                          // 000000006A10: D81A1520 00002B0B
	v_mfma_f32_16x16x16_f16 v[64:67], v[100:101], a[68:69], v[64:67]// 000000006A18: D3CD0040 15028964
	v_cvt_pkrtz_f16_f32 v156, v56, v57                         // 000000006A20: D296009C 00027338
	v_mfma_f32_16x16x16_f16 v[64:67], v[102:103], a[70:71], v[64:67]// 000000006A28: D3CD0040 15028D66
	v_cvt_pkrtz_f16_f32 v157, v58, v59                         // 000000006A30: D296009D 0002773A
	v_add_u32_e32 v7, s66, v7                                  // 000000006A38: 680E0E42
	v_add_u32_e32 v8, s66, v8                                  // 000000006A3C: 68101042
	s_waitcnt lgkmcnt(0)                                       // 000000006A40: BF8CC07F
	s_barrier                                                  // 000000006A44: BF8A0000
	v_mfma_f32_16x16x16_f16 v[160:163], v[104:105], v[156:157], v[160:163]// 000000006A48: D3CD00A0 06833968
	v_subrev_f32_dpp v64, v158, v64 quad_perm:[0,0,0,0] row_mask:0xf bank_mask:0xf// 000000006A50: 068080FA FF00009E
	v_subrev_f32_dpp v65, v158, v65 quad_perm:[1,1,1,1] row_mask:0xf bank_mask:0xf// 000000006A58: 068282FA FF00559E
	buffer_atomic_add_f32 v144, v7, s[32:35], 0 offen          // 000000006A60: E1341000 80089007
	v_mfma_f32_16x16x16_f16 v[164:167], v[106:107], v[156:157], v[164:167]// 000000006A68: D3CD00A4 0693396A
	v_subrev_f32_dpp v66, v158, v66 quad_perm:[2,2,2,2] row_mask:0xf bank_mask:0xf// 000000006A70: 068484FA FF00AA9E
	v_subrev_f32_dpp v67, v158, v67 quad_perm:[3,3,3,3] row_mask:0xf bank_mask:0xf// 000000006A78: 068686FA FF00FF9E
	buffer_atomic_add_f32 v145, v8, s[32:35], 0 offen          // 000000006A80: E1341000 80089108
	v_mfma_f32_16x16x16_f16 v[168:171], v[108:109], v[156:157], v[168:171]// 000000006A88: D3CD00A8 06A3396C
	v_mul_f32_e32 v64, v56, v64                                // 000000006A90: 0A808138
	v_mul_f32_e32 v65, v57, v65                                // 000000006A94: 0A828339
	buffer_atomic_add_f32 v146, v7, s[32:35], 0 offen offset:128// 000000006A98: E1341080 80089207
	v_mfma_f32_16x16x16_f16 v[172:175], v[110:111], v[156:157], v[172:175]// 000000006AA0: D3CD00AC 06B3396E
	v_mul_f32_e32 v66, v58, v66                                // 000000006AA8: 0A84853A
	v_mul_f32_e32 v67, v59, v67                                // 000000006AAC: 0A86873B
	buffer_atomic_add_f32 v147, v8, s[32:35], 0 offen offset:128// 000000006AB0: E1341080 80089308
	v_mfma_f32_16x16x16_f16 v[176:179], v[112:113], v[156:157], v[176:179]// 000000006AB8: D3CD00B0 06C33970
	v_cvt_pkrtz_f16_f32 v64, v64, v65                          // 000000006AC0: D2960040 00028340
	v_mfma_f32_16x16x16_f16 v[180:183], v[114:115], v[156:157], v[180:183]// 000000006AC8: D3CD00B4 06D33972
	v_cvt_pkrtz_f16_f32 v65, v66, v67                          // 000000006AD0: D2960041 00028742
	v_mfma_f32_16x16x16_f16 v[184:187], v[116:117], v[156:157], v[184:187]// 000000006AD8: D3CD00B8 06E33974
	v_mov_b32_dpp v16, v64 quad_perm:[1,0,3,2] row_mask:0xf bank_mask:0xf// 000000006AE0: 7E2002FA FF00B140
	v_perm_b32 v56, v16, v64, v15                              // 000000006AE8: D1ED0038 043E8110
	buffer_atomic_add_f32 v148, v7, s[32:35], 0 offen offset:256// 000000006AF0: E1341100 80089407
	v_mfma_f32_16x16x16_f16 v[188:191], v[118:119], v[156:157], v[188:191]// 000000006AF8: D3CD00BC 06F33976
	v_mov_b32_dpp v16, v65 quad_perm:[1,0,3,2] row_mask:0xf bank_mask:0xf// 000000006B00: 7E2002FA FF00B141
	v_perm_b32 v57, v16, v65, v15                              // 000000006B08: D1ED0039 043E8310
	buffer_atomic_add_f32 v149, v8, s[32:35], 0 offen offset:256// 000000006B10: E1341100 80089508
	v_mfma_f32_16x16x16_f16 v[192:195], v[120:121], v[156:157], v[192:195]// 000000006B18: D3CD00C0 07033978
	ds_write_b32 v13, v68 offset:6528                          // 000000006B20: D81A1980 0000440D
	ds_write_b32 v13, v69 offset:7584                          // 000000006B28: D81A1DA0 0000450D
	v_mfma_f32_16x16x16_f16 v[196:199], v[122:123], v[156:157], v[196:199]// 000000006B30: D3CD00C4 0713397A
	ds_write_b32 v18, v56 offset:26112                         // 000000006B38: D81A6600 00003812
	ds_write_b32 v18, v57 offset:26656                         // 000000006B40: D81A6820 00003912
	v_mfma_f32_16x16x16_f16 v[200:203], v[124:125], v[156:157], v[200:203]// 000000006B48: D3CD00C8 0723397C
	ds_write_b32 v13, v70 offset:8704                          // 000000006B50: D81A2200 0000460D
	ds_write_b32 v13, v71 offset:9760                          // 000000006B58: D81A2620 0000470D
	v_mfma_f32_16x16x16_f16 v[204:207], v[126:127], v[156:157], v[204:207]// 000000006B60: D3CD00CC 0733397E
	ds_write_b32 v13, v72 offset:10880                         // 000000006B68: D81A2A80 0000480D
	ds_write_b32 v13, v73 offset:11936                         // 000000006B70: D81A2EA0 0000490D
	s_barrier                                                  // 000000006B78: BF8A0000
	v_mfma_f32_16x16x16_f16 a[96:99], a[72:73], v[64:65], a[96:99]// 000000006B7C: D3CD8060 0D828148
	ds_read_b32 v128, v21 offset:41216                         // 000000006B84: D86CA100 80000015
	ds_read_b32 v158, v21 offset:41472                         // 000000006B8C: D86CA200 9E000015
	v_mfma_f32_16x16x16_f16 a[100:103], a[74:75], v[64:65], a[100:103]// 000000006B94: D3CD8064 0D92814A
	buffer_atomic_add_f32 v150, v7, s[32:35], 0 offen offset:384// 000000006B9C: E1341180 80089607
	buffer_atomic_add_f32 v151, v8, s[32:35], 0 offen offset:384// 000000006BA4: E1341180 80089708
	v_mfma_f32_16x16x16_f16 a[104:107], a[76:77], v[64:65], a[104:107]// 000000006BAC: D3CD8068 0DA2814C
	s_waitcnt lgkmcnt(6)                                       // 000000006BB4: BF8CC67F
	s_barrier                                                  // 000000006BB8: BF8A0000
	v_mfma_f32_16x16x16_f16 a[108:111], a[78:79], v[64:65], a[108:111]// 000000006BBC: D3CD806C 0DB2814E
	s_mov_b64 exec, s[92:93]                                   // 000000006BC4: BEFE015C
	buffer_atomic_add_f32 v152, v7, s[32:35], 0 offen offset:512// 000000006BC8: E1341200 80089807
	s_mov_b32 exec_lo, -1                                      // 000000006BD0: BEFE00C1
	s_mov_b32 exec_hi, -1                                      // 000000006BD4: BEFF00C1
	v_mfma_f32_16x16x16_f16 a[112:115], a[80:81], v[64:65], a[112:115]// 000000006BD8: D3CD8070 0DC28150
	ds_read_b128 v[56:59], v17 offset:26112                    // 000000006BE0: D9FE6600 38000011
	v_mfma_f32_16x16x16_f16 a[116:119], a[82:83], v[64:65], a[116:119]// 000000006BE8: D3CD8074 0DD28152
	s_mov_b64 exec, s[92:93]                                   // 000000006BF0: BEFE015C
	buffer_atomic_add_f32 v153, v8, s[32:35], 0 offen offset:512// 000000006BF4: E1341200 80089908
	s_mov_b32 exec_lo, -1                                      // 000000006BFC: BEFE00C1
	s_mov_b32 exec_hi, -1                                      // 000000006C00: BEFF00C1
	v_mfma_f32_16x16x16_f16 a[120:123], a[84:85], v[64:65], a[120:123]// 000000006C04: D3CD8078 0DE28154
	ds_read_b128 v[60:63], v17 offset:27264                    // 000000006C0C: D9FE6A80 3C000011
	v_mfma_f32_16x16x16_f16 a[124:127], a[86:87], v[64:65], a[124:127]// 000000006C14: D3CD807C 0DF28156
	s_mov_b64 exec, s[94:95]                                   // 000000006C1C: BEFE015E
	buffer_atomic_add_f32 v154, v7, s[32:35], 0 offen offset:640// 000000006C20: E1341280 80089A07
	s_mov_b32 exec_lo, -1                                      // 000000006C28: BEFE00C1
	s_mov_b32 exec_hi, -1                                      // 000000006C2C: BEFF00C1
	v_mfma_f32_16x16x16_f16 a[128:131], a[88:89], v[64:65], a[128:131]// 000000006C30: D3CD8080 0E028158
	ds_write_b32 v13, v74 offset:19584                         // 000000006C38: D81A4C80 00004A0D
	ds_write_b32 v13, v75 offset:20640                         // 000000006C40: D81A50A0 00004B0D
	v_mfma_f32_16x16x16_f16 a[132:135], a[90:91], v[64:65], a[132:135]// 000000006C48: D3CD8084 0E12815A
	s_mov_b64 exec, s[94:95]                                   // 000000006C50: BEFE015E
	buffer_atomic_add_f32 v155, v8, s[32:35], 0 offen offset:640// 000000006C54: E1341280 80089B08
	s_mov_b32 exec_lo, -1                                      // 000000006C5C: BEFE00C1
	s_mov_b32 exec_hi, -1                                      // 000000006C60: BEFF00C1
	v_mfma_f32_16x16x16_f16 a[136:139], a[92:93], v[64:65], a[136:139]// 000000006C64: D3CD8088 0E22815C
	ds_write_b32 v13, v76 offset:21760                         // 000000006C6C: D81A5500 00004C0D
	ds_write_b32 v13, v77 offset:22816                         // 000000006C74: D81A5920 00004D0D
	v_mfma_f32_16x16x16_f16 a[140:143], a[94:95], v[64:65], a[140:143]// 000000006C7C: D3CD808C 0E32815E
	ds_write_b32 v13, v78 offset:23936                         // 000000006C84: D81A5D80 00004E0D
	ds_write_b32 v13, v79 offset:24992                         // 000000006C8C: D81A61A0 00004F0D
	s_waitcnt vmcnt(12) lgkmcnt(6)                             // 000000006C94: BF8C067C
	s_barrier                                                  // 000000006C98: BF8A0000
	v_mfma_f32_16x16x16_f16 v[132:135], v[56:57], a[24:25], 0  // 000000006C9C: D3CD0084 12023138
	ds_read_b128 a[72:75], v10                                 // 000000006CA4: DBFE0000 4800000A
	ds_read_b128 a[76:79], v10 offset:512                      // 000000006CAC: DBFE0200 4C00000A
	ds_read_b128 a[80:83], v10 offset:2176                     // 000000006CB4: DBFE0880 5000000A
	buffer_load_dword v38, v1, s[8:11], 0 idxen                // 000000006CBC: E0502000 80022601
	buffer_load_dword v39, v2, s[8:11], 0 idxen                // 000000006CC4: E0502000 80022702
	v_mfma_f32_16x16x16_f16 v[132:135], v[58:59], a[30:31], v[132:135]// 000000006CCC: D3CD0084 16123D3A
	v_mul_f32_e32 v128, s48, v128                              // 000000006CD4: 0B010030
	v_perm_b32 v68, v33, v32, s63                              // 000000006CD8: D1ED0044 00FE4121
	v_perm_b32 v69, v33, v32, s64                              // 000000006CE0: D1ED0045 01024121
	v_perm_b32 v70, v35, v34, s63                              // 000000006CE8: D1ED0046 00FE4523
	v_mfma_f32_16x16x16_f16 v[132:135], v[60:61], a[36:37], v[132:135]// 000000006CF0: D3CD0084 1612493C
	ds_read_b128 a[84:87], v10 offset:2688                     // 000000006CF8: DBFE0A80 5400000A
	ds_read_b128 a[88:91], v10 offset:4352                     // 000000006D00: DBFE1100 5800000A
	ds_read_b128 a[92:95], v10 offset:4864                     // 000000006D08: DBFE1300 5C00000A
	buffer_load_dword v40, v1, s[8:11], 0 idxen offset:128     // 000000006D10: E0502080 80022801
	buffer_load_dword v41, v2, s[8:11], 0 idxen offset:128     // 000000006D18: E0502080 80022902
	v_mfma_f32_16x16x16_f16 v[132:135], v[62:63], a[42:43], v[132:135]// 000000006D20: D3CD0084 1612553E
	v_perm_b32 v71, v35, v34, s64                              // 000000006D28: D1ED0047 01024523
	v_perm_b32 v72, v37, v36, s63                              // 000000006D30: D1ED0048 00FE4925
	v_perm_b32 v73, v37, v36, s64                              // 000000006D38: D1ED0049 01024925
	v_mfma_f32_16x16x16_f16 v[136:139], v[56:57], a[26:27], 0  // 000000006D40: D3CD0088 12023538
	ds_read_b128 v[80:83], v10 offset:13056                    // 000000006D48: D9FE3300 5000000A
	ds_read_b128 v[84:87], v10 offset:13568                    // 000000006D50: D9FE3500 5400000A
	ds_read_b128 v[88:91], v10 offset:15232                    // 000000006D58: D9FE3B80 5800000A
	buffer_load_dword v50, v208, s[20:23], 0 idxen             // 000000006D60: E0502000 800532D0
	buffer_load_dword v51, v209, s[20:23], 0 idxen             // 000000006D68: E0502000 800533D1
	v_mfma_f32_16x16x16_f16 v[136:139], v[58:59], a[32:33], v[136:139]// 000000006D70: D3CD0088 1622413A
	v_perm_b32 v74, v45, v44, s63                              // 000000006D78: D1ED004A 00FE592D
	v_perm_b32 v75, v45, v44, s64                              // 000000006D80: D1ED004B 0102592D
	v_perm_b32 v76, v47, v46, s63                              // 000000006D88: D1ED004C 00FE5D2F
	v_mov_b32_dpp v131, v128 quad_perm:[3,3,3,3] row_mask:0xf bank_mask:0xf// 000000006D90: 7F0602FA FF00FF80
	v_mov_b32_dpp v130, v128 quad_perm:[2,2,2,2] row_mask:0xf bank_mask:0xf// 000000006D98: 7F0402FA FF00AA80
	v_mfma_f32_16x16x16_f16 v[136:139], v[60:61], a[38:39], v[136:139]// 000000006DA0: D3CD0088 16224D3C
	ds_read_b128 v[92:95], v10 offset:15744                    // 000000006DA8: D9FE3D80 5C00000A
	ds_read_b128 v[96:99], v10 offset:17408                    // 000000006DB0: D9FE4400 6000000A
	ds_read_b128 v[100:103], v10 offset:17920                  // 000000006DB8: D9FE4600 6400000A
	buffer_load_dword v52, v208, s[20:23], 0 idxen offset:128  // 000000006DC0: E0502080 800534D0
	buffer_load_dword v53, v209, s[20:23], 0 idxen offset:128  // 000000006DC8: E0502080 800535D1
	v_mfma_f32_16x16x16_f16 v[136:139], v[62:63], a[44:45], v[136:139]// 000000006DD0: D3CD0088 1622593E
	v_perm_b32 v77, v47, v46, s64                              // 000000006DD8: D1ED004D 01025D2F
	v_perm_b32 v78, v49, v48, s63                              // 000000006DE0: D1ED004E 00FE6131
	v_perm_b32 v79, v49, v48, s64                              // 000000006DE8: D1ED004F 01026131
	v_mov_b32_dpp v129, v128 quad_perm:[1,1,1,1] row_mask:0xf bank_mask:0xf// 000000006DF0: 7F0202FA FF005580
	v_mov_b32_dpp v128, v128 quad_perm:[0,0,0,0] row_mask:0xf bank_mask:0xf// 000000006DF8: 7F0002FA FF000080
	v_mfma_f32_16x16x16_f16 v[140:143], v[56:57], a[28:29], 0  // 000000006E00: D3CD008C 12023938
	buffer_load_dword v9, s[24:27], 0 idxen lds                // 000000006E08: E0512000 80060009
	v_mov_b32_e32 v42, 0                                       // 000000006E10: 7E540280
	s_mov_b64 exec, s[88:89]                                   // 000000006E14: BEFE0158
	buffer_load_dword v42, v1, s[8:11], 0 idxen offset:256     // 000000006E18: E0502100 80022A01
	s_mov_b32 exec_lo, -1                                      // 000000006E20: BEFE00C1
	s_mov_b32 exec_hi, -1                                      // 000000006E24: BEFF00C1
	v_mov_b32_e32 v43, 0                                       // 000000006E28: 7E560280
	s_mov_b64 exec, s[88:89]                                   // 000000006E2C: BEFE0158
	buffer_load_dword v43, v2, s[8:11], 0 idxen offset:256     // 000000006E30: E0502100 80022B02
	s_mov_b32 exec_lo, -1                                      // 000000006E38: BEFE00C1
	s_mov_b32 exec_hi, -1                                      // 000000006E3C: BEFF00C1
	v_mfma_f32_16x16x16_f16 v[140:143], v[58:59], a[34:35], v[140:143]// 000000006E40: D3CD008C 1632453A
	s_add_u32 s60, 64, s59                                     // 000000006E48: 803C3BC0
	s_cmp_lt_u32 s60, s58                                      // 000000006E4C: BF0A3A3C
	s_cselect_b32 s68, s68, 0                                  // 000000006E50: 85448044
	s_cselect_b32 s97, s97, 0                                  // 000000006E54: 85618061
	s_cselect_b32 s69, s69, 0                                  // 000000006E58: 85458045
	v_mfma_f32_16x16x16_f16 v[140:143], v[60:61], a[40:41], v[140:143]// 000000006E5C: D3CD008C 1632513C
	v_mov_b32_e32 v54, 0                                       // 000000006E64: 7E6C0280
	s_mov_b64 exec, s[88:89]                                   // 000000006E68: BEFE0158
	buffer_load_dword v54, v208, s[20:23], 0 idxen offset:256  // 000000006E6C: E0502100 800536D0
	s_mov_b32 exec_lo, -1                                      // 000000006E74: BEFE00C1
	s_mov_b32 exec_hi, -1                                      // 000000006E78: BEFF00C1
	v_mov_b32_e32 v55, 0                                       // 000000006E7C: 7E6E0280
	s_mov_b64 exec, s[88:89]                                   // 000000006E80: BEFE0158
	buffer_load_dword v55, v209, s[20:23], 0 idxen offset:256  // 000000006E84: E0502100 800537D1
	s_mov_b32 exec_lo, -1                                      // 000000006E8C: BEFE00C1
	s_mov_b32 exec_hi, -1                                      // 000000006E90: BEFF00C1
	v_add_u32_e32 v1, s68, v1                                  // 000000006E94: 68020244
	v_add_u32_e32 v2, s68, v2                                  // 000000006E98: 68040444
	v_add_u32_e32 v208, s97, v208                              // 000000006E9C: 69A1A061
	v_add_u32_e32 v209, s97, v209                              // 000000006EA0: 69A3A261
	s_mov_b32 m0, s78                                          // 000000006EA4: BEFC004E
	v_add_u32_e32 v9, s69, v9                                  // 000000006EA8: 68121245
	v_mfma_f32_16x16x16_f16 v[140:143], v[62:63], a[46:47], v[140:143]// 000000006EAC: D3CD008C 16325D3E
	s_cmp_ge_u32 s59, s73                                      // 000000006EB4: BF09493B
	s_cselect_b32 s66, s67, s66                                // 000000006EB8: 85424243
	s_addk_i32 s59, 0x10                                       // 000000006EBC: B73B0010
	s_nop 0                                                    // 000000006EC0: BF800000
	s_cmp_lt_i32 s59, s58                                      // 000000006EC4: BF043A3B
	s_cbranch_scc0 label_0A31                                  // 000000006EC8: BF84FDFE
	s_waitcnt lgkmcnt(0)                                       // 000000006ECC: BF8CC07F
	s_barrier                                                  // 000000006ED0: BF8A0000
	v_mfma_f32_16x16x16_f16 v[56:59], a[72:73], a[0:1], 0      // 000000006ED4: D3CD0038 1A020148
	v_mul_f32_e32 v132, s47, v132                              // 000000006EDC: 0B09082F
	v_mul_f32_e32 v133, s47, v133                              // 000000006EE0: 0B0B0A2F
	v_mul_f32_e32 v134, s47, v134                              // 000000006EE4: 0B0D0C2F
	v_mul_f32_e32 v135, s47, v135                              // 000000006EE8: 0B0F0E2F
	v_mfma_f32_16x16x16_f16 v[56:59], a[74:75], a[2:3], v[56:59]// 000000006EEC: D3CD0038 1CE2054A
	ds_write_b32 v11, v44 offset:13056                         // 000000006EF4: D81A3300 00002C0B
	ds_write_b32 v11, v45 offset:14112                         // 000000006EFC: D81A3720 00002D0B
	ds_write_b32 v11, v46 offset:15232                         // 000000006F04: D81A3B80 00002E0B
	v_mfma_f32_16x16x16_f16 v[56:59], a[76:77], a[4:5], v[56:59]// 000000006F0C: D3CD0038 1CE2094C
	v_mul_f32_e32 v136, s47, v136                              // 000000006F14: 0B11102F
	v_mul_f32_e32 v137, s47, v137                              // 000000006F18: 0B13122F
	v_mul_f32_e32 v138, s47, v138                              // 000000006F1C: 0B15142F
	v_mul_f32_e32 v139, s47, v139                              // 000000006F20: 0B17162F
	v_mfma_f32_16x16x16_f16 v[56:59], a[78:79], a[6:7], v[56:59]// 000000006F24: D3CD0038 1CE20D4E
	ds_write_b32 v11, v47 offset:16288                         // 000000006F2C: D81A3FA0 00002F0B
	ds_write_b32 v11, v48 offset:17408                         // 000000006F34: D81A4400 0000300B
	ds_write_b32 v11, v49 offset:18464                         // 000000006F3C: D81A4820 0000310B
	v_mfma_f32_16x16x16_f16 v[56:59], a[80:81], a[8:9], v[56:59]// 000000006F44: D3CD0038 1CE21150
	v_mul_f32_e32 v140, s47, v140                              // 000000006F4C: 0B19182F
	v_mul_f32_e32 v141, s47, v141                              // 000000006F50: 0B1B1A2F
	v_mul_f32_e32 v142, s47, v142                              // 000000006F54: 0B1D1C2F
	v_mul_f32_e32 v143, s47, v143                              // 000000006F58: 0B1F1E2F
	v_mfma_f32_16x16x16_f16 v[56:59], a[82:83], a[10:11], v[56:59]// 000000006F5C: D3CD0038 1CE21552
	ds_write_b64 v20, v[132:133] offset:28416                  // 000000006F64: D89A6F00 00008414
	ds_write_b64 v20, v[134:135] offset:28928                  // 000000006F6C: D89A7100 00008614
	v_mfma_f32_16x16x16_f16 v[56:59], a[84:85], a[12:13], v[56:59]// 000000006F74: D3CD0038 1CE21954
	ds_write_b64 v20, v[136:137] offset:29440                  // 000000006F7C: D89A7300 00008814
	ds_write_b64 v20, v[138:139] offset:29952                  // 000000006F84: D89A7500 00008A14
	v_mfma_f32_16x16x16_f16 v[56:59], a[86:87], a[14:15], v[56:59]// 000000006F8C: D3CD0038 1CE21D56
	ds_write_b64 v20, v[140:141] offset:30464                  // 000000006F94: D89A7700 00008C14
	ds_write_b64 v20, v[142:143] offset:30976                  // 000000006F9C: D89A7900 00008E14
	v_mfma_f32_16x16x16_f16 v[56:59], a[88:89], a[16:17], v[56:59]// 000000006FA4: D3CD0038 1CE22158
	ds_read_b128 v[104:107], v12 offset:19584                  // 000000006FAC: D9FE4C80 6800000C
	v_mfma_f32_16x16x16_f16 v[56:59], a[90:91], a[18:19], v[56:59]// 000000006FB4: D3CD0038 1CE2255A
	ds_read_b128 v[108:111], v12 offset:20096                  // 000000006FBC: D9FE4E80 6C00000C
	v_mfma_f32_16x16x16_f16 v[56:59], a[92:93], a[20:21], v[56:59]// 000000006FC4: D3CD0038 1CE2295C
	ds_read_b128 v[112:115], v12 offset:21760                  // 000000006FCC: D9FE5500 7000000C
	ds_read_b128 v[116:119], v12 offset:22272                  // 000000006FD4: D9FE5700 7400000C
	v_mfma_f32_16x16x16_f16 v[56:59], a[94:95], a[22:23], v[56:59]// 000000006FDC: D3CD0038 1CE22D5E
	ds_read_b128 v[120:123], v12 offset:23936                  // 000000006FE4: D9FE5D80 7800000C
	ds_read_b128 v[124:127], v12 offset:24448                  // 000000006FEC: D9FE5F80 7C00000C
	s_cmp_lt_i32 s74, 4                                        // 000000006FF4: BF04844A
	s_cbranch_scc0 label_0CA9                                  // 000000006FF8: BF84002A
	s_mov_b32 s60, 0xffe0fffe                                  // 000000006FFC: BEBC00FF FFE0FFFE
	s_mov_b32 s61, 0xe000fe00                                  // 000000007004: BEBD00FF E000FE00
	s_nop 0                                                    // 00000000700C: BF800000
	s_cmp_lt_i32 s74, s46                                      // 000000007010: BF042E4A
	s_cbranch_scc1 label_0CA4                                  // 000000007014: BF85001E
	s_cmp_eq_i32 s74, s46                                      // 000000007018: BF002E4A
	s_cbranch_scc1 label_0C89                                  // 00000000701C: BF850001
	s_branch label_0CA9                                        // 000000007020: BF820020

0000000000007024 <label_0C89>:
	v_cndmask_b32_e64 v56, v56, v159, s[60:61]                 // 000000007024: D1000038 00F33F38
	s_lshl_b32 s60, s60, 1                                     // 00000000702C: 8E3C813C
	s_lshl_b32 s61, s61, 1                                     // 000000007030: 8E3D813D
	s_and_b32 s60, 0xfffeffff, s60                             // 000000007034: 863C3CFF FFFEFFFF
	s_and_b32 s61, 0xfffeffff, s61                             // 00000000703C: 863D3DFF FFFEFFFF
	v_cndmask_b32_e64 v57, v57, v159, s[60:61]                 // 000000007044: D1000039 00F33F39
	s_lshl_b32 s60, s60, 1                                     // 00000000704C: 8E3C813C
	s_lshl_b32 s61, s61, 1                                     // 000000007050: 8E3D813D
	s_and_b32 s60, 0xfffeffff, s60                             // 000000007054: 863C3CFF FFFEFFFF
	s_and_b32 s61, 0xfffeffff, s61                             // 00000000705C: 863D3DFF FFFEFFFF
	v_cndmask_b32_e64 v58, v58, v159, s[60:61]                 // 000000007064: D100003A 00F33F3A
	s_lshl_b32 s60, s60, 1                                     // 00000000706C: 8E3C813C
	s_lshl_b32 s61, s61, 1                                     // 000000007070: 8E3D813D
	s_and_b32 s60, 0xfffeffff, s60                             // 000000007074: 863C3CFF FFFEFFFF
	s_and_b32 s61, 0xfffeffff, s61                             // 00000000707C: 863D3DFF FFFEFFFF
	v_cndmask_b32_e64 v59, v59, v159, s[60:61]                 // 000000007084: D100003B 00F33F3B
	s_branch label_0CA9                                        // 00000000708C: BF820005

0000000000007090 <label_0CA4>:
	v_mov_b32_e32 v56, v159                                    // 000000007090: 7E70039F
	v_mov_b32_e32 v57, v159                                    // 000000007094: 7E72039F
	v_mov_b32_e32 v58, v159                                    // 000000007098: 7E74039F
	v_mov_b32_e32 v59, v159                                    // 00000000709C: 7E76039F
	s_branch label_0CA9                                        // 0000000070A0: BF820000

00000000000070a4 <label_0CA9>:
	s_cmp_lt_i32 s98, 64                                       // 0000000070A4: BF04C062
	s_cbranch_scc0 label_0CBA                                  // 0000000070A8: BF84000F
	v_and_b32_e32 v28, 15, v0                                  // 0000000070AC: 2638008F
	v_mul_i32_i24_e64 v29, s46, 16                             // 0000000070B0: D106001D 0001202E
	v_add_u32_e32 v28, v28, v29                                // 0000000070B8: 68383B1C
	v_cmp_lt_u32_e64 s[60:61], v28, s98                        // 0000000070BC: D0C9003C 0000C51C
	s_nop 1                                                    // 0000000070C4: BF800001
	v_cndmask_b32_e64 v56, v159, v56, s[60:61]                 // 0000000070C8: D1000038 00F2719F
	v_cndmask_b32_e64 v57, v159, v57, s[60:61]                 // 0000000070D0: D1000039 00F2739F
	v_cndmask_b32_e64 v58, v159, v58, s[60:61]                 // 0000000070D8: D100003A 00F2759F
	v_cndmask_b32_e64 v59, v159, v59, s[60:61]                 // 0000000070E0: D100003B 00F2779F

00000000000070e8 <label_0CBA>:
	s_addk_i32 s74, 0x1                                        // 0000000070E8: B74A0001
	s_waitcnt lgkmcnt(6)                                       // 0000000070EC: BF8CC67F
	s_barrier                                                  // 0000000070F0: BF8A0000
	v_mfma_f32_16x16x16_f16 v[64:67], v[80:81], a[48:49], 0    // 0000000070F4: D3CD0040 12026150
	v_fma_f32 v56, v56, s57, -v128                             // 0000000070FC: D1CB0038 86007338
	v_fma_f32 v57, v57, s57, -v129                             // 000000007104: D1CB0039 86047339
	v_fma_f32 v58, v58, s57, -v130                             // 00000000710C: D1CB003A 8608733A
	v_fma_f32 v59, v59, s57, -v131                             // 000000007114: D1CB003B 860C733B
	v_mfma_f32_16x16x16_f16 v[64:67], v[82:83], a[50:51], v[64:67]// 00000000711C: D3CD0040 15026552
	ds_read_b128 a[72:75], v12 offset:6528                     // 000000007124: DBFE1980 4800000C
	ds_read_b128 a[76:79], v12 offset:7040                     // 00000000712C: DBFE1B80 4C00000C
	ds_write_b32 v11, v32                                      // 000000007134: D81A0000 0000200B
	ds_write_b32 v11, v33 offset:1056                          // 00000000713C: D81A0420 0000210B
	v_mfma_f32_16x16x16_f16 v[64:67], v[84:85], a[52:53], v[64:67]// 000000007144: D3CD0040 15026954
	v_exp_f32_e32 v56, v56                                     // 00000000714C: 7E704138
	v_mfma_f32_16x16x16_f16 v[64:67], v[86:87], a[54:55], v[64:67]// 000000007150: D3CD0040 15026D56
	ds_read_b128 a[80:83], v12 offset:8704                     // 000000007158: DBFE2200 5000000C
	ds_read_b128 a[84:87], v12 offset:9216                     // 000000007160: DBFE2400 5400000C
	ds_write_b32 v11, v34 offset:2176                          // 000000007168: D81A0880 0000220B
	v_mfma_f32_16x16x16_f16 v[64:67], v[88:89], a[56:57], v[64:67]// 000000007170: D3CD0040 15027158
	v_exp_f32_e32 v57, v57                                     // 000000007178: 7E724139
	v_mfma_f32_16x16x16_f16 v[64:67], v[90:91], a[58:59], v[64:67]// 00000000717C: D3CD0040 1502755A
	ds_read_b128 a[88:91], v12 offset:10880                    // 000000007184: DBFE2A80 5800000C
	ds_read_b128 a[92:95], v12 offset:11392                    // 00000000718C: DBFE2C80 5C00000C
	ds_write_b32 v11, v35 offset:3232                          // 000000007194: D81A0CA0 0000230B
	v_mfma_f32_16x16x16_f16 v[64:67], v[92:93], a[60:61], v[64:67]// 00000000719C: D3CD0040 1502795C
	v_exp_f32_e32 v58, v58                                     // 0000000071A4: 7E74413A
	v_mfma_f32_16x16x16_f16 v[64:67], v[94:95], a[62:63], v[64:67]// 0000000071A8: D3CD0040 15027D5E
	ds_read_b64 v[144:145], v19 offset:28416                   // 0000000071B0: D8EC6F00 90000013
	ds_read_b64 v[146:147], v19 offset:30464                   // 0000000071B8: D8EC7700 92000013
	ds_read_b64 v[148:149], v19 offset:32512                   // 0000000071C0: D8EC7F00 94000013
	ds_write_b32 v11, v36 offset:4352                          // 0000000071C8: D81A1100 0000240B
	v_mfma_f32_16x16x16_f16 v[64:67], v[96:97], a[64:65], v[64:67]// 0000000071D0: D3CD0040 15028160
	v_exp_f32_e32 v59, v59                                     // 0000000071D8: 7E76413B
	v_mfma_f32_16x16x16_f16 v[64:67], v[98:99], a[66:67], v[64:67]// 0000000071DC: D3CD0040 15028562
	ds_read_b64 v[150:151], v19 offset:34560                   // 0000000071E4: D8EC8700 96000013
	ds_read_b64 v[152:153], v19 offset:36608                   // 0000000071EC: D8EC8F00 98000013
	ds_read_b64 v[154:155], v19 offset:38656                   // 0000000071F4: D8EC9700 9A000013
	ds_write_b32 v11, v37 offset:5408                          // 0000000071FC: D81A1520 0000250B
	v_mfma_f32_16x16x16_f16 v[64:67], v[100:101], a[68:69], v[64:67]// 000000007204: D3CD0040 15028964
	v_cvt_pkrtz_f16_f32 v156, v56, v57                         // 00000000720C: D296009C 00027338
	v_mfma_f32_16x16x16_f16 v[64:67], v[102:103], a[70:71], v[64:67]// 000000007214: D3CD0040 15028D66
	v_cvt_pkrtz_f16_f32 v157, v58, v59                         // 00000000721C: D296009D 0002773A
	v_add_u32_e32 v7, s66, v7                                  // 000000007224: 680E0E42
	v_add_u32_e32 v8, s66, v8                                  // 000000007228: 68101042
	s_waitcnt lgkmcnt(0)                                       // 00000000722C: BF8CC07F
	s_barrier                                                  // 000000007230: BF8A0000
	v_mfma_f32_16x16x16_f16 v[160:163], v[104:105], v[156:157], v[160:163]// 000000007234: D3CD00A0 06833968
	v_subrev_f32_dpp v64, v158, v64 quad_perm:[0,0,0,0] row_mask:0xf bank_mask:0xf// 00000000723C: 068080FA FF00009E
	v_subrev_f32_dpp v65, v158, v65 quad_perm:[1,1,1,1] row_mask:0xf bank_mask:0xf// 000000007244: 068282FA FF00559E
	buffer_atomic_add_f32 v144, v7, s[32:35], 0 offen          // 00000000724C: E1341000 80089007
	v_mfma_f32_16x16x16_f16 v[164:167], v[106:107], v[156:157], v[164:167]// 000000007254: D3CD00A4 0693396A
	v_subrev_f32_dpp v66, v158, v66 quad_perm:[2,2,2,2] row_mask:0xf bank_mask:0xf// 00000000725C: 068484FA FF00AA9E
	v_subrev_f32_dpp v67, v158, v67 quad_perm:[3,3,3,3] row_mask:0xf bank_mask:0xf// 000000007264: 068686FA FF00FF9E
	buffer_atomic_add_f32 v145, v8, s[32:35], 0 offen          // 00000000726C: E1341000 80089108
	v_mfma_f32_16x16x16_f16 v[168:171], v[108:109], v[156:157], v[168:171]// 000000007274: D3CD00A8 06A3396C
	v_mul_f32_e32 v64, v56, v64                                // 00000000727C: 0A808138
	v_mul_f32_e32 v65, v57, v65                                // 000000007280: 0A828339
	buffer_atomic_add_f32 v146, v7, s[32:35], 0 offen offset:128// 000000007284: E1341080 80089207
	v_mfma_f32_16x16x16_f16 v[172:175], v[110:111], v[156:157], v[172:175]// 00000000728C: D3CD00AC 06B3396E
	v_mul_f32_e32 v66, v58, v66                                // 000000007294: 0A84853A
	v_mul_f32_e32 v67, v59, v67                                // 000000007298: 0A86873B
	buffer_atomic_add_f32 v147, v8, s[32:35], 0 offen offset:128// 00000000729C: E1341080 80089308
	v_mfma_f32_16x16x16_f16 v[176:179], v[112:113], v[156:157], v[176:179]// 0000000072A4: D3CD00B0 06C33970
	v_cvt_pkrtz_f16_f32 v64, v64, v65                          // 0000000072AC: D2960040 00028340
	v_mfma_f32_16x16x16_f16 v[180:183], v[114:115], v[156:157], v[180:183]// 0000000072B4: D3CD00B4 06D33972
	v_cvt_pkrtz_f16_f32 v65, v66, v67                          // 0000000072BC: D2960041 00028742
	v_mfma_f32_16x16x16_f16 v[184:187], v[116:117], v[156:157], v[184:187]// 0000000072C4: D3CD00B8 06E33974
	v_mov_b32_dpp v16, v64 quad_perm:[1,0,3,2] row_mask:0xf bank_mask:0xf// 0000000072CC: 7E2002FA FF00B140
	v_perm_b32 v56, v16, v64, v15                              // 0000000072D4: D1ED0038 043E8110
	buffer_atomic_add_f32 v148, v7, s[32:35], 0 offen offset:256// 0000000072DC: E1341100 80089407
	v_mfma_f32_16x16x16_f16 v[188:191], v[118:119], v[156:157], v[188:191]// 0000000072E4: D3CD00BC 06F33976
	v_mov_b32_dpp v16, v65 quad_perm:[1,0,3,2] row_mask:0xf bank_mask:0xf// 0000000072EC: 7E2002FA FF00B141
	v_perm_b32 v57, v16, v65, v15                              // 0000000072F4: D1ED0039 043E8310
	buffer_atomic_add_f32 v149, v8, s[32:35], 0 offen offset:256// 0000000072FC: E1341100 80089508
	v_mfma_f32_16x16x16_f16 v[192:195], v[120:121], v[156:157], v[192:195]// 000000007304: D3CD00C0 07033978
	ds_write_b32 v13, v68 offset:6528                          // 00000000730C: D81A1980 0000440D
	ds_write_b32 v13, v69 offset:7584                          // 000000007314: D81A1DA0 0000450D
	v_mfma_f32_16x16x16_f16 v[196:199], v[122:123], v[156:157], v[196:199]// 00000000731C: D3CD00C4 0713397A
	ds_write_b32 v18, v56 offset:26112                         // 000000007324: D81A6600 00003812
	ds_write_b32 v18, v57 offset:26656                         // 00000000732C: D81A6820 00003912
	v_mfma_f32_16x16x16_f16 v[200:203], v[124:125], v[156:157], v[200:203]// 000000007334: D3CD00C8 0723397C
	ds_write_b32 v13, v70 offset:8704                          // 00000000733C: D81A2200 0000460D
	ds_write_b32 v13, v71 offset:9760                          // 000000007344: D81A2620 0000470D
	v_mfma_f32_16x16x16_f16 v[204:207], v[126:127], v[156:157], v[204:207]// 00000000734C: D3CD00CC 0733397E
	ds_write_b32 v13, v72 offset:10880                         // 000000007354: D81A2A80 0000480D
	ds_write_b32 v13, v73 offset:11936                         // 00000000735C: D81A2EA0 0000490D
	s_barrier                                                  // 000000007364: BF8A0000
	v_mfma_f32_16x16x16_f16 a[96:99], a[72:73], v[64:65], a[96:99]// 000000007368: D3CD8060 0D828148
	ds_read_b32 v128, v21 offset:40704                         // 000000007370: D86C9F00 80000015
	ds_read_b32 v158, v21 offset:40960                         // 000000007378: D86CA000 9E000015
	v_mfma_f32_16x16x16_f16 a[100:103], a[74:75], v[64:65], a[100:103]// 000000007380: D3CD8064 0D92814A
	buffer_atomic_add_f32 v150, v7, s[32:35], 0 offen offset:384// 000000007388: E1341180 80089607
	buffer_atomic_add_f32 v151, v8, s[32:35], 0 offen offset:384// 000000007390: E1341180 80089708
	v_mfma_f32_16x16x16_f16 a[104:107], a[76:77], v[64:65], a[104:107]// 000000007398: D3CD8068 0DA2814C
	s_waitcnt lgkmcnt(6)                                       // 0000000073A0: BF8CC67F
	s_barrier                                                  // 0000000073A4: BF8A0000
	v_mfma_f32_16x16x16_f16 a[108:111], a[78:79], v[64:65], a[108:111]// 0000000073A8: D3CD806C 0DB2814E
	s_mov_b64 exec, s[92:93]                                   // 0000000073B0: BEFE015C
	buffer_atomic_add_f32 v152, v7, s[32:35], 0 offen offset:512// 0000000073B4: E1341200 80089807
	s_mov_b32 exec_lo, -1                                      // 0000000073BC: BEFE00C1
	s_mov_b32 exec_hi, -1                                      // 0000000073C0: BEFF00C1
	v_mfma_f32_16x16x16_f16 a[112:115], a[80:81], v[64:65], a[112:115]// 0000000073C4: D3CD8070 0DC28150
	ds_read_b128 v[56:59], v17 offset:26112                    // 0000000073CC: D9FE6600 38000011
	v_mfma_f32_16x16x16_f16 a[116:119], a[82:83], v[64:65], a[116:119]// 0000000073D4: D3CD8074 0DD28152
	s_mov_b64 exec, s[92:93]                                   // 0000000073DC: BEFE015C
	buffer_atomic_add_f32 v153, v8, s[32:35], 0 offen offset:512// 0000000073E0: E1341200 80089908
	s_mov_b32 exec_lo, -1                                      // 0000000073E8: BEFE00C1
	s_mov_b32 exec_hi, -1                                      // 0000000073EC: BEFF00C1
	v_mfma_f32_16x16x16_f16 a[120:123], a[84:85], v[64:65], a[120:123]// 0000000073F0: D3CD8078 0DE28154
	ds_read_b128 v[60:63], v17 offset:27264                    // 0000000073F8: D9FE6A80 3C000011
	v_mfma_f32_16x16x16_f16 a[124:127], a[86:87], v[64:65], a[124:127]// 000000007400: D3CD807C 0DF28156
	s_mov_b64 exec, s[94:95]                                   // 000000007408: BEFE015E
	buffer_atomic_add_f32 v154, v7, s[32:35], 0 offen offset:640// 00000000740C: E1341280 80089A07
	s_mov_b32 exec_lo, -1                                      // 000000007414: BEFE00C1
	s_mov_b32 exec_hi, -1                                      // 000000007418: BEFF00C1
	v_mfma_f32_16x16x16_f16 a[128:131], a[88:89], v[64:65], a[128:131]// 00000000741C: D3CD8080 0E028158
	ds_write_b32 v13, v74 offset:19584                         // 000000007424: D81A4C80 00004A0D
	ds_write_b32 v13, v75 offset:20640                         // 00000000742C: D81A50A0 00004B0D
	v_mfma_f32_16x16x16_f16 a[132:135], a[90:91], v[64:65], a[132:135]// 000000007434: D3CD8084 0E12815A
	s_mov_b64 exec, s[94:95]                                   // 00000000743C: BEFE015E
	buffer_atomic_add_f32 v155, v8, s[32:35], 0 offen offset:640// 000000007440: E1341280 80089B08
	s_mov_b32 exec_lo, -1                                      // 000000007448: BEFE00C1
	s_mov_b32 exec_hi, -1                                      // 00000000744C: BEFF00C1
	v_mfma_f32_16x16x16_f16 a[136:139], a[92:93], v[64:65], a[136:139]// 000000007450: D3CD8088 0E22815C
	ds_write_b32 v13, v76 offset:21760                         // 000000007458: D81A5500 00004C0D
	ds_write_b32 v13, v77 offset:22816                         // 000000007460: D81A5920 00004D0D
	v_mfma_f32_16x16x16_f16 a[140:143], a[94:95], v[64:65], a[140:143]// 000000007468: D3CD808C 0E32815E
	ds_write_b32 v13, v78 offset:23936                         // 000000007470: D81A5D80 00004E0D
	ds_write_b32 v13, v79 offset:24992                         // 000000007478: D81A61A0 00004F0D
	s_waitcnt vmcnt(12) lgkmcnt(6)                             // 000000007480: BF8C067C
	s_barrier                                                  // 000000007484: BF8A0000
	v_mfma_f32_16x16x16_f16 v[132:135], v[56:57], a[24:25], 0  // 000000007488: D3CD0084 12023138
	ds_read_b128 a[72:75], v10                                 // 000000007490: DBFE0000 4800000A
	ds_read_b128 a[76:79], v10 offset:512                      // 000000007498: DBFE0200 4C00000A
	ds_read_b128 a[80:83], v10 offset:2176                     // 0000000074A0: DBFE0880 5000000A
	buffer_load_dword v32, v1, s[8:11], 0 idxen                // 0000000074A8: E0502000 80022001
	buffer_load_dword v33, v2, s[8:11], 0 idxen                // 0000000074B0: E0502000 80022102
	v_mfma_f32_16x16x16_f16 v[132:135], v[58:59], a[30:31], v[132:135]// 0000000074B8: D3CD0084 16123D3A
	v_mul_f32_e32 v128, s48, v128                              // 0000000074C0: 0B010030
	v_perm_b32 v68, v39, v38, s63                              // 0000000074C4: D1ED0044 00FE4D27
	v_perm_b32 v69, v39, v38, s64                              // 0000000074CC: D1ED0045 01024D27
	v_perm_b32 v70, v41, v40, s63                              // 0000000074D4: D1ED0046 00FE5129
	v_mfma_f32_16x16x16_f16 v[132:135], v[60:61], a[36:37], v[132:135]// 0000000074DC: D3CD0084 1612493C
	ds_read_b128 a[84:87], v10 offset:2688                     // 0000000074E4: DBFE0A80 5400000A
	ds_read_b128 a[88:91], v10 offset:4352                     // 0000000074EC: DBFE1100 5800000A
	ds_read_b128 a[92:95], v10 offset:4864                     // 0000000074F4: DBFE1300 5C00000A
	buffer_load_dword v34, v1, s[8:11], 0 idxen offset:128     // 0000000074FC: E0502080 80022201
	buffer_load_dword v35, v2, s[8:11], 0 idxen offset:128     // 000000007504: E0502080 80022302
	v_mfma_f32_16x16x16_f16 v[132:135], v[62:63], a[42:43], v[132:135]// 00000000750C: D3CD0084 1612553E
	v_perm_b32 v71, v41, v40, s64                              // 000000007514: D1ED0047 01025129
	v_perm_b32 v72, v43, v42, s63                              // 00000000751C: D1ED0048 00FE552B
	v_perm_b32 v73, v43, v42, s64                              // 000000007524: D1ED0049 0102552B
	v_mfma_f32_16x16x16_f16 v[136:139], v[56:57], a[26:27], 0  // 00000000752C: D3CD0088 12023538
	ds_read_b128 v[80:83], v10 offset:13056                    // 000000007534: D9FE3300 5000000A
	ds_read_b128 v[84:87], v10 offset:13568                    // 00000000753C: D9FE3500 5400000A
	ds_read_b128 v[88:91], v10 offset:15232                    // 000000007544: D9FE3B80 5800000A
	buffer_load_dword v44, v208, s[20:23], 0 idxen             // 00000000754C: E0502000 80052CD0
	buffer_load_dword v45, v209, s[20:23], 0 idxen             // 000000007554: E0502000 80052DD1
	v_mfma_f32_16x16x16_f16 v[136:139], v[58:59], a[32:33], v[136:139]// 00000000755C: D3CD0088 1622413A
	v_perm_b32 v74, v51, v50, s63                              // 000000007564: D1ED004A 00FE6533
	v_perm_b32 v75, v51, v50, s64                              // 00000000756C: D1ED004B 01026533
	v_perm_b32 v76, v53, v52, s63                              // 000000007574: D1ED004C 00FE6935
	v_mov_b32_dpp v131, v128 quad_perm:[3,3,3,3] row_mask:0xf bank_mask:0xf// 00000000757C: 7F0602FA FF00FF80
	v_mov_b32_dpp v130, v128 quad_perm:[2,2,2,2] row_mask:0xf bank_mask:0xf// 000000007584: 7F0402FA FF00AA80
	v_mfma_f32_16x16x16_f16 v[136:139], v[60:61], a[38:39], v[136:139]// 00000000758C: D3CD0088 16224D3C
	ds_read_b128 v[92:95], v10 offset:15744                    // 000000007594: D9FE3D80 5C00000A
	ds_read_b128 v[96:99], v10 offset:17408                    // 00000000759C: D9FE4400 6000000A
	ds_read_b128 v[100:103], v10 offset:17920                  // 0000000075A4: D9FE4600 6400000A
	buffer_load_dword v46, v208, s[20:23], 0 idxen offset:128  // 0000000075AC: E0502080 80052ED0
	buffer_load_dword v47, v209, s[20:23], 0 idxen offset:128  // 0000000075B4: E0502080 80052FD1
	v_mfma_f32_16x16x16_f16 v[136:139], v[62:63], a[44:45], v[136:139]// 0000000075BC: D3CD0088 1622593E
	v_perm_b32 v77, v53, v52, s64                              // 0000000075C4: D1ED004D 01026935
	v_perm_b32 v78, v55, v54, s63                              // 0000000075CC: D1ED004E 00FE6D37
	v_perm_b32 v79, v55, v54, s64                              // 0000000075D4: D1ED004F 01026D37
	v_mov_b32_dpp v129, v128 quad_perm:[1,1,1,1] row_mask:0xf bank_mask:0xf// 0000000075DC: 7F0202FA FF005580
	v_mov_b32_dpp v128, v128 quad_perm:[0,0,0,0] row_mask:0xf bank_mask:0xf// 0000000075E4: 7F0002FA FF000080
	v_mfma_f32_16x16x16_f16 v[140:143], v[56:57], a[28:29], 0  // 0000000075EC: D3CD008C 12023938
	buffer_load_dword v9, s[24:27], 0 idxen lds                // 0000000075F4: E0512000 80060009
	v_mov_b32_e32 v36, 0                                       // 0000000075FC: 7E480280
	s_mov_b64 exec, s[88:89]                                   // 000000007600: BEFE0158
	buffer_load_dword v36, v1, s[8:11], 0 idxen offset:256     // 000000007604: E0502100 80022401
	s_mov_b32 exec_lo, -1                                      // 00000000760C: BEFE00C1
	s_mov_b32 exec_hi, -1                                      // 000000007610: BEFF00C1
	v_mov_b32_e32 v37, 0                                       // 000000007614: 7E4A0280
	s_mov_b64 exec, s[88:89]                                   // 000000007618: BEFE0158
	buffer_load_dword v37, v2, s[8:11], 0 idxen offset:256     // 00000000761C: E0502100 80022502
	s_mov_b32 exec_lo, -1                                      // 000000007624: BEFE00C1
	s_mov_b32 exec_hi, -1                                      // 000000007628: BEFF00C1
	v_mfma_f32_16x16x16_f16 v[140:143], v[58:59], a[34:35], v[140:143]// 00000000762C: D3CD008C 1632453A
	s_add_u32 s60, 64, s59                                     // 000000007634: 803C3BC0
	s_cmp_lt_u32 s60, s58                                      // 000000007638: BF0A3A3C
	s_cselect_b32 s68, s68, 0                                  // 00000000763C: 85448044
	s_cselect_b32 s97, s97, 0                                  // 000000007640: 85618061
	s_cselect_b32 s69, s69, 0                                  // 000000007644: 85458045
	v_mfma_f32_16x16x16_f16 v[140:143], v[60:61], a[40:41], v[140:143]// 000000007648: D3CD008C 1632513C
	v_mov_b32_e32 v48, 0                                       // 000000007650: 7E600280
	s_mov_b64 exec, s[88:89]                                   // 000000007654: BEFE0158
	buffer_load_dword v48, v208, s[20:23], 0 idxen offset:256  // 000000007658: E0502100 800530D0
	s_mov_b32 exec_lo, -1                                      // 000000007660: BEFE00C1
	s_mov_b32 exec_hi, -1                                      // 000000007664: BEFF00C1
	v_mov_b32_e32 v49, 0                                       // 000000007668: 7E620280
	s_mov_b64 exec, s[88:89]                                   // 00000000766C: BEFE0158
	buffer_load_dword v49, v209, s[20:23], 0 idxen offset:256  // 000000007670: E0502100 800531D1
	s_mov_b32 exec_lo, -1                                      // 000000007678: BEFE00C1
	s_mov_b32 exec_hi, -1                                      // 00000000767C: BEFF00C1
	v_add_u32_e32 v1, s68, v1                                  // 000000007680: 68020244
	v_add_u32_e32 v2, s68, v2                                  // 000000007684: 68040444
	v_add_u32_e32 v208, s97, v208                              // 000000007688: 69A1A061
	v_add_u32_e32 v209, s97, v209                              // 00000000768C: 69A3A261
	s_mov_b32 m0, s79                                          // 000000007690: BEFC004F
	v_add_u32_e32 v9, s69, v9                                  // 000000007694: 68121245
	v_mfma_f32_16x16x16_f16 v[140:143], v[62:63], a[46:47], v[140:143]// 000000007698: D3CD008C 16325D3E
	s_cmp_ge_u32 s59, s73                                      // 0000000076A0: BF09493B
	s_cselect_b32 s66, s67, s66                                // 0000000076A4: 85424243
	s_addk_i32 s59, 0x10                                       // 0000000076A8: B73B0010
	s_nop 0                                                    // 0000000076AC: BF800000
	s_cmp_lt_i32 s59, s58                                      // 0000000076B0: BF043A3B
	s_cbranch_scc0 label_0A31                                  // 0000000076B4: BF84FC03
	s_branch label_0A38                                        // 0000000076B8: BF82FC09

00000000000076bc <label_0E2F>:
	v_add_u32_e32 v7, s66, v7                                  // 0000000076BC: 680E0E42
	v_add_u32_e32 v8, s66, v8                                  // 0000000076C0: 68101042
	v_lshrrev_b32_e32 v28, 5, v0                               // 0000000076C4: 20380085
	v_mul_i32_i24_e32 v25, 0x44, v28                           // 0000000076C8: 0C3238FF 00000044
	v_and_b32_e32 v28, 31, v0                                  // 0000000076D0: 2638009F
	v_mul_i32_i24_e32 v29, 2, v28                              // 0000000076D4: 0C3A3882
	v_add_u32_e32 v25, v29, v25                                // 0000000076D8: 6832331D
	s_mul_i32 s60, s46, 0x660                                  // 0000000076DC: 923CFF2E 00000660
	v_add_u32_e32 v25, s60, v25                                // 0000000076E4: 6832323C
	v_lshlrev_b32_e32 v25, 2, v25                              // 0000000076E8: 24323282
	v_mul_f32_e32 v132, s47, v132                              // 0000000076EC: 0B09082F
	v_mul_f32_e32 v133, s47, v133                              // 0000000076F0: 0B0B0A2F
	v_mul_f32_e32 v134, s47, v134                              // 0000000076F4: 0B0D0C2F
	v_mul_f32_e32 v135, s47, v135                              // 0000000076F8: 0B0F0E2F
	v_mul_f32_e32 v136, s47, v136                              // 0000000076FC: 0B11102F
	v_mul_f32_e32 v137, s47, v137                              // 000000007700: 0B13122F
	v_mul_f32_e32 v138, s47, v138                              // 000000007704: 0B15142F
	v_mul_f32_e32 v139, s47, v139                              // 000000007708: 0B17162F
	v_mul_f32_e32 v140, s47, v140                              // 00000000770C: 0B19182F
	v_mul_f32_e32 v141, s47, v141                              // 000000007710: 0B1B1A2F
	v_mul_f32_e32 v142, s47, v142                              // 000000007714: 0B1D1C2F
	v_mul_f32_e32 v143, s47, v143                              // 000000007718: 0B1F1E2F
	ds_write_b64 v20, v[132:133] offset:28416                  // 00000000771C: D89A6F00 00008414
	ds_write_b64 v20, v[134:135] offset:28928                  // 000000007724: D89A7100 00008614
	ds_write_b64 v20, v[136:137] offset:29440                  // 00000000772C: D89A7300 00008814
	ds_write_b64 v20, v[138:139] offset:29952                  // 000000007734: D89A7500 00008A14
	ds_write_b64 v20, v[140:141] offset:30464                  // 00000000773C: D89A7700 00008C14
	ds_write_b64 v20, v[142:143] offset:30976                  // 000000007744: D89A7900 00008E14
	s_waitcnt lgkmcnt(0)                                       // 00000000774C: BF8CC07F
	s_barrier                                                  // 000000007750: BF8A0000
	ds_read_b64 v[144:145], v19 offset:28416                   // 000000007754: D8EC6F00 90000013
	ds_read_b64 v[146:147], v19 offset:30464                   // 00000000775C: D8EC7700 92000013
	ds_read_b64 v[148:149], v19 offset:32512                   // 000000007764: D8EC7F00 94000013
	ds_read_b64 v[150:151], v19 offset:34560                   // 00000000776C: D8EC8700 96000013
	ds_read_b64 v[152:153], v19 offset:36608                   // 000000007774: D8EC8F00 98000013
	ds_read_b64 v[154:155], v19 offset:38656                   // 00000000777C: D8EC9700 9A000013
	s_waitcnt lgkmcnt(0)                                       // 000000007784: BF8CC07F
	s_barrier                                                  // 000000007788: BF8A0000
	buffer_atomic_add_f32 v144, v7, s[32:35], 0 offen          // 00000000778C: E1341000 80089007
	buffer_atomic_add_f32 v145, v8, s[32:35], 0 offen          // 000000007794: E1341000 80089108
	buffer_atomic_add_f32 v146, v7, s[32:35], 0 offen offset:128// 00000000779C: E1341080 80089207
	buffer_atomic_add_f32 v147, v8, s[32:35], 0 offen offset:128// 0000000077A4: E1341080 80089308
	buffer_atomic_add_f32 v148, v7, s[32:35], 0 offen offset:256// 0000000077AC: E1341100 80089407
	buffer_atomic_add_f32 v149, v8, s[32:35], 0 offen offset:256// 0000000077B4: E1341100 80089508
	buffer_atomic_add_f32 v150, v7, s[32:35], 0 offen offset:384// 0000000077BC: E1341180 80089607
	buffer_atomic_add_f32 v151, v8, s[32:35], 0 offen offset:384// 0000000077C4: E1341180 80089708
	s_mov_b64 exec, s[92:93]                                   // 0000000077CC: BEFE015C
	buffer_atomic_add_f32 v152, v7, s[32:35], 0 offen offset:512// 0000000077D0: E1341200 80089807
	s_mov_b32 exec_lo, -1                                      // 0000000077D8: BEFE00C1
	s_mov_b32 exec_hi, -1                                      // 0000000077DC: BEFF00C1
	s_mov_b64 exec, s[92:93]                                   // 0000000077E0: BEFE015C
	buffer_atomic_add_f32 v153, v8, s[32:35], 0 offen offset:512// 0000000077E4: E1341200 80089908
	s_mov_b32 exec_lo, -1                                      // 0000000077EC: BEFE00C1
	s_mov_b32 exec_hi, -1                                      // 0000000077F0: BEFF00C1
	s_mov_b64 exec, s[94:95]                                   // 0000000077F4: BEFE015E
	buffer_atomic_add_f32 v154, v7, s[32:35], 0 offen offset:640// 0000000077F8: E1341280 80089A07
	s_mov_b32 exec_lo, -1                                      // 000000007800: BEFE00C1
	s_mov_b32 exec_hi, -1                                      // 000000007804: BEFF00C1
	s_mov_b64 exec, s[94:95]                                   // 000000007808: BEFE015E
	buffer_atomic_add_f32 v155, v8, s[32:35], 0 offen offset:640// 00000000780C: E1341280 80089B08
	s_mov_b32 exec_lo, -1                                      // 000000007814: BEFE00C1
	s_mov_b32 exec_hi, -1                                      // 000000007818: BEFF00C1
	v_lshrrev_b32_e32 v28, 3, v0                               // 00000000781C: 20380083
	v_mul_i32_i24_e32 v24, 2, v28                              // 000000007820: 0C303882
	v_and_b32_e32 v28, 7, v0                                   // 000000007824: 26380087
	v_mul_i32_i24_e32 v29, 0x44, v28                           // 000000007828: 0C3A38FF 00000044
	v_add_u32_e32 v24, v29, v24                                // 000000007830: 6830311D
	s_mul_i32 s60, s46, 0x660                                  // 000000007834: 923CFF2E 00000660
	v_add_u32_e32 v24, s60, v24                                // 00000000783C: 6830303C
	v_lshlrev_b32_e32 v24, 2, v24                              // 000000007840: 24303082
	v_and_b32_e32 v28, 7, v0                                   // 000000007844: 26380087
	v_mov_b32_e32 v29, s96                                     // 000000007848: 7E3A0260
	v_mov_b32_e32 v30, 0x80                                    // 00000000784C: 7E3C02FF 00000080
	v_sub_u32_e32 v29, v29, v30                                // 000000007854: 6A3A3D1D
	v_lshrrev_b32_e32 v29, 3, v29                              // 000000007858: 203A3A83
	v_cmp_lt_u32_e64 s[90:91], v28, v29                        // 00000000785C: D0C9005A 00023B1C
	v_accvgpr_read_b32 v28, a96                                // 000000007864: D3D8401C 18000160
	v_accvgpr_read_b32 v29, a97                                // 00000000786C: D3D8401D 18000161
	v_mul_f32_e32 v28, s47, v28                                // 000000007874: 0A38382F
	v_mul_f32_e32 v29, s47, v29                                // 000000007878: 0A3A3A2F
	v_cvt_pkrtz_f16_f32 v56, v28, v29                          // 00000000787C: D2960038 00023B1C
	v_accvgpr_read_b32 v28, a98                                // 000000007884: D3D8401C 18000162
	v_accvgpr_read_b32 v29, a99                                // 00000000788C: D3D8401D 18000163
	v_mul_f32_e32 v28, s47, v28                                // 000000007894: 0A38382F
	v_mul_f32_e32 v29, s47, v29                                // 000000007898: 0A3A3A2F
	v_cvt_pkrtz_f16_f32 v57, v28, v29                          // 00000000789C: D2960039 00023B1C
	v_accvgpr_read_b32 v28, a100                               // 0000000078A4: D3D8401C 18000164
	v_accvgpr_read_b32 v29, a101                               // 0000000078AC: D3D8401D 18000165
	v_mul_f32_e32 v28, s47, v28                                // 0000000078B4: 0A38382F
	v_mul_f32_e32 v29, s47, v29                                // 0000000078B8: 0A3A3A2F
	v_cvt_pkrtz_f16_f32 v58, v28, v29                          // 0000000078BC: D296003A 00023B1C
	v_accvgpr_read_b32 v28, a102                               // 0000000078C4: D3D8401C 18000166
	v_accvgpr_read_b32 v29, a103                               // 0000000078CC: D3D8401D 18000167
	v_mul_f32_e32 v28, s47, v28                                // 0000000078D4: 0A38382F
	v_mul_f32_e32 v29, s47, v29                                // 0000000078D8: 0A3A3A2F
	v_cvt_pkrtz_f16_f32 v59, v28, v29                          // 0000000078DC: D296003B 00023B1C
	v_accvgpr_read_b32 v28, a104                               // 0000000078E4: D3D8401C 18000168
	v_accvgpr_read_b32 v29, a105                               // 0000000078EC: D3D8401D 18000169
	v_mul_f32_e32 v28, s47, v28                                // 0000000078F4: 0A38382F
	v_mul_f32_e32 v29, s47, v29                                // 0000000078F8: 0A3A3A2F
	v_cvt_pkrtz_f16_f32 v60, v28, v29                          // 0000000078FC: D296003C 00023B1C
	v_accvgpr_read_b32 v28, a106                               // 000000007904: D3D8401C 1800016A
	v_accvgpr_read_b32 v29, a107                               // 00000000790C: D3D8401D 1800016B
	v_mul_f32_e32 v28, s47, v28                                // 000000007914: 0A38382F
	v_mul_f32_e32 v29, s47, v29                                // 000000007918: 0A3A3A2F
	v_cvt_pkrtz_f16_f32 v61, v28, v29                          // 00000000791C: D296003D 00023B1C
	v_accvgpr_read_b32 v28, a108                               // 000000007924: D3D8401C 1800016C
	v_accvgpr_read_b32 v29, a109                               // 00000000792C: D3D8401D 1800016D
	v_mul_f32_e32 v28, s47, v28                                // 000000007934: 0A38382F
	v_mul_f32_e32 v29, s47, v29                                // 000000007938: 0A3A3A2F
	v_cvt_pkrtz_f16_f32 v62, v28, v29                          // 00000000793C: D296003E 00023B1C
	v_accvgpr_read_b32 v28, a110                               // 000000007944: D3D8401C 1800016E
	v_accvgpr_read_b32 v29, a111                               // 00000000794C: D3D8401D 1800016F
	v_mul_f32_e32 v28, s47, v28                                // 000000007954: 0A38382F
	v_mul_f32_e32 v29, s47, v29                                // 000000007958: 0A3A3A2F
	v_cvt_pkrtz_f16_f32 v63, v28, v29                          // 00000000795C: D296003F 00023B1C
	v_accvgpr_read_b32 v28, a112                               // 000000007964: D3D8401C 18000170
	v_accvgpr_read_b32 v29, a113                               // 00000000796C: D3D8401D 18000171
	v_mul_f32_e32 v28, s47, v28                                // 000000007974: 0A38382F
	v_mul_f32_e32 v29, s47, v29                                // 000000007978: 0A3A3A2F
	v_cvt_pkrtz_f16_f32 v64, v28, v29                          // 00000000797C: D2960040 00023B1C
	v_accvgpr_read_b32 v28, a114                               // 000000007984: D3D8401C 18000172
	v_accvgpr_read_b32 v29, a115                               // 00000000798C: D3D8401D 18000173
	v_mul_f32_e32 v28, s47, v28                                // 000000007994: 0A38382F
	v_mul_f32_e32 v29, s47, v29                                // 000000007998: 0A3A3A2F
	v_cvt_pkrtz_f16_f32 v65, v28, v29                          // 00000000799C: D2960041 00023B1C
	v_accvgpr_read_b32 v28, a116                               // 0000000079A4: D3D8401C 18000174
	v_accvgpr_read_b32 v29, a117                               // 0000000079AC: D3D8401D 18000175
	v_mul_f32_e32 v28, s47, v28                                // 0000000079B4: 0A38382F
	v_mul_f32_e32 v29, s47, v29                                // 0000000079B8: 0A3A3A2F
	v_cvt_pkrtz_f16_f32 v66, v28, v29                          // 0000000079BC: D2960042 00023B1C
	v_accvgpr_read_b32 v28, a118                               // 0000000079C4: D3D8401C 18000176
	v_accvgpr_read_b32 v29, a119                               // 0000000079CC: D3D8401D 18000177
	v_mul_f32_e32 v28, s47, v28                                // 0000000079D4: 0A38382F
	v_mul_f32_e32 v29, s47, v29                                // 0000000079D8: 0A3A3A2F
	v_cvt_pkrtz_f16_f32 v67, v28, v29                          // 0000000079DC: D2960043 00023B1C
	v_accvgpr_read_b32 v28, a120                               // 0000000079E4: D3D8401C 18000178
	v_accvgpr_read_b32 v29, a121                               // 0000000079EC: D3D8401D 18000179
	v_mul_f32_e32 v28, s47, v28                                // 0000000079F4: 0A38382F
	v_mul_f32_e32 v29, s47, v29                                // 0000000079F8: 0A3A3A2F
	v_cvt_pkrtz_f16_f32 v68, v28, v29                          // 0000000079FC: D2960044 00023B1C
	v_accvgpr_read_b32 v28, a122                               // 000000007A04: D3D8401C 1800017A
	v_accvgpr_read_b32 v29, a123                               // 000000007A0C: D3D8401D 1800017B
	v_mul_f32_e32 v28, s47, v28                                // 000000007A14: 0A38382F
	v_mul_f32_e32 v29, s47, v29                                // 000000007A18: 0A3A3A2F
	v_cvt_pkrtz_f16_f32 v69, v28, v29                          // 000000007A1C: D2960045 00023B1C
	v_accvgpr_read_b32 v28, a124                               // 000000007A24: D3D8401C 1800017C
	v_accvgpr_read_b32 v29, a125                               // 000000007A2C: D3D8401D 1800017D
	v_mul_f32_e32 v28, s47, v28                                // 000000007A34: 0A38382F
	v_mul_f32_e32 v29, s47, v29                                // 000000007A38: 0A3A3A2F
	v_cvt_pkrtz_f16_f32 v70, v28, v29                          // 000000007A3C: D2960046 00023B1C
	v_accvgpr_read_b32 v28, a126                               // 000000007A44: D3D8401C 1800017E
	v_accvgpr_read_b32 v29, a127                               // 000000007A4C: D3D8401D 1800017F
	v_mul_f32_e32 v28, s47, v28                                // 000000007A54: 0A38382F
	v_mul_f32_e32 v29, s47, v29                                // 000000007A58: 0A3A3A2F
	v_cvt_pkrtz_f16_f32 v71, v28, v29                          // 000000007A5C: D2960047 00023B1C
	v_accvgpr_read_b32 v28, a128                               // 000000007A64: D3D8401C 18000180
	v_accvgpr_read_b32 v29, a129                               // 000000007A6C: D3D8401D 18000181
	v_mul_f32_e32 v28, s47, v28                                // 000000007A74: 0A38382F
	v_mul_f32_e32 v29, s47, v29                                // 000000007A78: 0A3A3A2F
	v_cvt_pkrtz_f16_f32 v72, v28, v29                          // 000000007A7C: D2960048 00023B1C
	v_accvgpr_read_b32 v28, a130                               // 000000007A84: D3D8401C 18000182
	v_accvgpr_read_b32 v29, a131                               // 000000007A8C: D3D8401D 18000183
	v_mul_f32_e32 v28, s47, v28                                // 000000007A94: 0A38382F
	v_mul_f32_e32 v29, s47, v29                                // 000000007A98: 0A3A3A2F
	v_cvt_pkrtz_f16_f32 v73, v28, v29                          // 000000007A9C: D2960049 00023B1C
	v_accvgpr_read_b32 v28, a132                               // 000000007AA4: D3D8401C 18000184
	v_accvgpr_read_b32 v29, a133                               // 000000007AAC: D3D8401D 18000185
	v_mul_f32_e32 v28, s47, v28                                // 000000007AB4: 0A38382F
	v_mul_f32_e32 v29, s47, v29                                // 000000007AB8: 0A3A3A2F
	v_cvt_pkrtz_f16_f32 v74, v28, v29                          // 000000007ABC: D296004A 00023B1C
	v_accvgpr_read_b32 v28, a134                               // 000000007AC4: D3D8401C 18000186
	v_accvgpr_read_b32 v29, a135                               // 000000007ACC: D3D8401D 18000187
	v_mul_f32_e32 v28, s47, v28                                // 000000007AD4: 0A38382F
	v_mul_f32_e32 v29, s47, v29                                // 000000007AD8: 0A3A3A2F
	v_cvt_pkrtz_f16_f32 v75, v28, v29                          // 000000007ADC: D296004B 00023B1C
	v_accvgpr_read_b32 v28, a136                               // 000000007AE4: D3D8401C 18000188
	v_accvgpr_read_b32 v29, a137                               // 000000007AEC: D3D8401D 18000189
	v_mul_f32_e32 v28, s47, v28                                // 000000007AF4: 0A38382F
	v_mul_f32_e32 v29, s47, v29                                // 000000007AF8: 0A3A3A2F
	v_cvt_pkrtz_f16_f32 v76, v28, v29                          // 000000007AFC: D296004C 00023B1C
	v_accvgpr_read_b32 v28, a138                               // 000000007B04: D3D8401C 1800018A
	v_accvgpr_read_b32 v29, a139                               // 000000007B0C: D3D8401D 1800018B
	v_mul_f32_e32 v28, s47, v28                                // 000000007B14: 0A38382F
	v_mul_f32_e32 v29, s47, v29                                // 000000007B18: 0A3A3A2F
	v_cvt_pkrtz_f16_f32 v77, v28, v29                          // 000000007B1C: D296004D 00023B1C
	v_accvgpr_read_b32 v28, a140                               // 000000007B24: D3D8401C 1800018C
	v_accvgpr_read_b32 v29, a141                               // 000000007B2C: D3D8401D 1800018D
	v_mul_f32_e32 v28, s47, v28                                // 000000007B34: 0A38382F
	v_mul_f32_e32 v29, s47, v29                                // 000000007B38: 0A3A3A2F
	v_cvt_pkrtz_f16_f32 v78, v28, v29                          // 000000007B3C: D296004E 00023B1C
	v_accvgpr_read_b32 v28, a142                               // 000000007B44: D3D8401C 1800018E
	v_accvgpr_read_b32 v29, a143                               // 000000007B4C: D3D8401D 1800018F
	v_mul_f32_e32 v28, s47, v28                                // 000000007B54: 0A38382F
	v_mul_f32_e32 v29, s47, v29                                // 000000007B58: 0A3A3A2F
	v_cvt_pkrtz_f16_f32 v79, v28, v29                          // 000000007B5C: D296004F 00023B1C
	ds_write_b64 v25, v[56:57]                                 // 000000007B64: D89A0000 00003819
	ds_write_b64 v25, v[58:59] offset:544                      // 000000007B6C: D89A0220 00003A19
	ds_write_b64 v25, v[60:61] offset:1088                     // 000000007B74: D89A0440 00003C19
	ds_write_b64 v25, v[62:63] offset:1632                     // 000000007B7C: D89A0660 00003E19
	ds_write_b64 v25, v[64:65] offset:2176                     // 000000007B84: D89A0880 00004019
	ds_write_b64 v25, v[66:67] offset:2720                     // 000000007B8C: D89A0AA0 00004219
	ds_write_b64 v25, v[68:69] offset:3264                     // 000000007B94: D89A0CC0 00004419
	ds_write_b64 v25, v[70:71] offset:3808                     // 000000007B9C: D89A0EE0 00004619
	ds_write_b64 v25, v[72:73] offset:4352                     // 000000007BA4: D89A1100 00004819
	ds_write_b64 v25, v[74:75] offset:4896                     // 000000007BAC: D89A1320 00004A19
	ds_write_b64 v25, v[76:77] offset:5440                     // 000000007BB4: D89A1540 00004C19
	ds_write_b64 v25, v[78:79] offset:5984                     // 000000007BBC: D89A1760 00004E19
	s_waitcnt lgkmcnt(0)                                       // 000000007BC4: BF8CC07F
	s_barrier                                                  // 000000007BC8: BF8A0000
	ds_read_b64 v[56:57], v24                                  // 000000007BCC: D8EC0000 38000018
	ds_read_b64 v[58:59], v24 offset:128                       // 000000007BD4: D8EC0080 3A000018
	ds_read_b64 v[60:61], v24 offset:64                        // 000000007BDC: D8EC0040 3C000018
	ds_read_b64 v[62:63], v24 offset:192                       // 000000007BE4: D8EC00C0 3E000018
	ds_read_b64 v[64:65], v24 offset:2176                      // 000000007BEC: D8EC0880 40000018
	ds_read_b64 v[66:67], v24 offset:2304                      // 000000007BF4: D8EC0900 42000018
	ds_read_b64 v[68:69], v24 offset:2240                      // 000000007BFC: D8EC08C0 44000018
	ds_read_b64 v[70:71], v24 offset:2368                      // 000000007C04: D8EC0940 46000018
	ds_read_b64 v[72:73], v24 offset:4352                      // 000000007C0C: D8EC1100 48000018
	ds_read_b64 v[74:75], v24 offset:4480                      // 000000007C14: D8EC1180 4A000018
	ds_read_b64 v[76:77], v24 offset:4416                      // 000000007C1C: D8EC1140 4C000018
	ds_read_b64 v[78:79], v24 offset:4544                      // 000000007C24: D8EC11C0 4E000018
	s_waitcnt lgkmcnt(0)                                       // 000000007C2C: BF8CC07F
	buffer_store_dwordx4 v[56:59], v3, s[36:39], 0 idxen       // 000000007C30: E07C2000 80093803
	v_add_u32_e32 v3, 32, v3                                   // 000000007C38: 680606A0
	buffer_store_dwordx4 v[60:63], v4, s[36:39], 0 idxen       // 000000007C3C: E07C2000 80093C04
	v_add_u32_e32 v4, 32, v4                                   // 000000007C44: 680808A0
	buffer_store_dwordx4 v[64:67], v3, s[36:39], 0 idxen       // 000000007C48: E07C2000 80094003
	v_add_u32_e32 v3, 32, v3                                   // 000000007C50: 680606A0
	buffer_store_dwordx4 v[68:71], v4, s[36:39], 0 idxen       // 000000007C54: E07C2000 80094404
	v_add_u32_e32 v4, 32, v4                                   // 000000007C5C: 680808A0
	s_mov_b64 exec, s[90:91]                                   // 000000007C60: BEFE015A
	buffer_store_dwordx4 v[72:75], v3, s[36:39], 0 idxen       // 000000007C64: E07C2000 80094803
	s_mov_b32 exec_lo, -1                                      // 000000007C6C: BEFE00C1
	s_mov_b32 exec_hi, -1                                      // 000000007C70: BEFF00C1
	v_add_u32_e32 v3, 32, v3                                   // 000000007C74: 680606A0
	s_mov_b64 exec, s[90:91]                                   // 000000007C78: BEFE015A
	buffer_store_dwordx4 v[76:79], v4, s[36:39], 0 idxen       // 000000007C7C: E07C2000 80094C04
	s_mov_b32 exec_lo, -1                                      // 000000007C84: BEFE00C1
	s_mov_b32 exec_hi, -1                                      // 000000007C88: BEFF00C1
	v_add_u32_e32 v4, 32, v4                                   // 000000007C8C: 680808A0
	s_barrier                                                  // 000000007C90: BF8A0000
	v_mov_b32_e32 v28, v160                                    // 000000007C94: 7E3803A0
	v_mov_b32_e32 v29, v161                                    // 000000007C98: 7E3A03A1
	v_cvt_pkrtz_f16_f32 v160, v28, v29                         // 000000007C9C: D29600A0 00023B1C
	v_mov_b32_e32 v28, v162                                    // 000000007CA4: 7E3803A2
	v_mov_b32_e32 v29, v163                                    // 000000007CA8: 7E3A03A3
	v_cvt_pkrtz_f16_f32 v161, v28, v29                         // 000000007CAC: D29600A1 00023B1C
	v_mov_b32_e32 v28, v164                                    // 000000007CB4: 7E3803A4
	v_mov_b32_e32 v29, v165                                    // 000000007CB8: 7E3A03A5
	v_cvt_pkrtz_f16_f32 v162, v28, v29                         // 000000007CBC: D29600A2 00023B1C
	v_mov_b32_e32 v28, v166                                    // 000000007CC4: 7E3803A6
	v_mov_b32_e32 v29, v167                                    // 000000007CC8: 7E3A03A7
	v_cvt_pkrtz_f16_f32 v163, v28, v29                         // 000000007CCC: D29600A3 00023B1C
	v_mov_b32_e32 v28, v168                                    // 000000007CD4: 7E3803A8
	v_mov_b32_e32 v29, v169                                    // 000000007CD8: 7E3A03A9
	v_cvt_pkrtz_f16_f32 v164, v28, v29                         // 000000007CDC: D29600A4 00023B1C
	v_mov_b32_e32 v28, v170                                    // 000000007CE4: 7E3803AA
	v_mov_b32_e32 v29, v171                                    // 000000007CE8: 7E3A03AB
	v_cvt_pkrtz_f16_f32 v165, v28, v29                         // 000000007CEC: D29600A5 00023B1C
	v_mov_b32_e32 v28, v172                                    // 000000007CF4: 7E3803AC
	v_mov_b32_e32 v29, v173                                    // 000000007CF8: 7E3A03AD
	v_cvt_pkrtz_f16_f32 v166, v28, v29                         // 000000007CFC: D29600A6 00023B1C
	v_mov_b32_e32 v28, v174                                    // 000000007D04: 7E3803AE
	v_mov_b32_e32 v29, v175                                    // 000000007D08: 7E3A03AF
	v_cvt_pkrtz_f16_f32 v167, v28, v29                         // 000000007D0C: D29600A7 00023B1C
	v_mov_b32_e32 v28, v176                                    // 000000007D14: 7E3803B0
	v_mov_b32_e32 v29, v177                                    // 000000007D18: 7E3A03B1
	v_cvt_pkrtz_f16_f32 v168, v28, v29                         // 000000007D1C: D29600A8 00023B1C
	v_mov_b32_e32 v28, v178                                    // 000000007D24: 7E3803B2
	v_mov_b32_e32 v29, v179                                    // 000000007D28: 7E3A03B3
	v_cvt_pkrtz_f16_f32 v169, v28, v29                         // 000000007D2C: D29600A9 00023B1C
	v_mov_b32_e32 v28, v180                                    // 000000007D34: 7E3803B4
	v_mov_b32_e32 v29, v181                                    // 000000007D38: 7E3A03B5
	v_cvt_pkrtz_f16_f32 v170, v28, v29                         // 000000007D3C: D29600AA 00023B1C
	v_mov_b32_e32 v28, v182                                    // 000000007D44: 7E3803B6
	v_mov_b32_e32 v29, v183                                    // 000000007D48: 7E3A03B7
	v_cvt_pkrtz_f16_f32 v171, v28, v29                         // 000000007D4C: D29600AB 00023B1C
	v_mov_b32_e32 v28, v184                                    // 000000007D54: 7E3803B8
	v_mov_b32_e32 v29, v185                                    // 000000007D58: 7E3A03B9
	v_cvt_pkrtz_f16_f32 v172, v28, v29                         // 000000007D5C: D29600AC 00023B1C
	v_mov_b32_e32 v28, v186                                    // 000000007D64: 7E3803BA
	v_mov_b32_e32 v29, v187                                    // 000000007D68: 7E3A03BB
	v_cvt_pkrtz_f16_f32 v173, v28, v29                         // 000000007D6C: D29600AD 00023B1C
	v_mov_b32_e32 v28, v188                                    // 000000007D74: 7E3803BC
	v_mov_b32_e32 v29, v189                                    // 000000007D78: 7E3A03BD
	v_cvt_pkrtz_f16_f32 v174, v28, v29                         // 000000007D7C: D29600AE 00023B1C
	v_mov_b32_e32 v28, v190                                    // 000000007D84: 7E3803BE
	v_mov_b32_e32 v29, v191                                    // 000000007D88: 7E3A03BF
	v_cvt_pkrtz_f16_f32 v175, v28, v29                         // 000000007D8C: D29600AF 00023B1C
	v_mov_b32_e32 v28, v192                                    // 000000007D94: 7E3803C0
	v_mov_b32_e32 v29, v193                                    // 000000007D98: 7E3A03C1
	v_cvt_pkrtz_f16_f32 v176, v28, v29                         // 000000007D9C: D29600B0 00023B1C
	v_mov_b32_e32 v28, v194                                    // 000000007DA4: 7E3803C2
	v_mov_b32_e32 v29, v195                                    // 000000007DA8: 7E3A03C3
	v_cvt_pkrtz_f16_f32 v177, v28, v29                         // 000000007DAC: D29600B1 00023B1C
	v_mov_b32_e32 v28, v196                                    // 000000007DB4: 7E3803C4
	v_mov_b32_e32 v29, v197                                    // 000000007DB8: 7E3A03C5
	v_cvt_pkrtz_f16_f32 v178, v28, v29                         // 000000007DBC: D29600B2 00023B1C
	v_mov_b32_e32 v28, v198                                    // 000000007DC4: 7E3803C6
	v_mov_b32_e32 v29, v199                                    // 000000007DC8: 7E3A03C7
	v_cvt_pkrtz_f16_f32 v179, v28, v29                         // 000000007DCC: D29600B3 00023B1C
	v_mov_b32_e32 v28, v200                                    // 000000007DD4: 7E3803C8
	v_mov_b32_e32 v29, v201                                    // 000000007DD8: 7E3A03C9
	v_cvt_pkrtz_f16_f32 v180, v28, v29                         // 000000007DDC: D29600B4 00023B1C
	v_mov_b32_e32 v28, v202                                    // 000000007DE4: 7E3803CA
	v_mov_b32_e32 v29, v203                                    // 000000007DE8: 7E3A03CB
	v_cvt_pkrtz_f16_f32 v181, v28, v29                         // 000000007DEC: D29600B5 00023B1C
	v_mov_b32_e32 v28, v204                                    // 000000007DF4: 7E3803CC
	v_mov_b32_e32 v29, v205                                    // 000000007DF8: 7E3A03CD
	v_cvt_pkrtz_f16_f32 v182, v28, v29                         // 000000007DFC: D29600B6 00023B1C
	v_mov_b32_e32 v28, v206                                    // 000000007E04: 7E3803CE
	v_mov_b32_e32 v29, v207                                    // 000000007E08: 7E3A03CF
	v_cvt_pkrtz_f16_f32 v183, v28, v29                         // 000000007E0C: D29600B7 00023B1C
	ds_write_b64 v25, v[160:161]                               // 000000007E14: D89A0000 0000A019
	ds_write_b64 v25, v[162:163] offset:544                    // 000000007E1C: D89A0220 0000A219
	ds_write_b64 v25, v[164:165] offset:1088                   // 000000007E24: D89A0440 0000A419
	ds_write_b64 v25, v[166:167] offset:1632                   // 000000007E2C: D89A0660 0000A619
	ds_write_b64 v25, v[168:169] offset:2176                   // 000000007E34: D89A0880 0000A819
	ds_write_b64 v25, v[170:171] offset:2720                   // 000000007E3C: D89A0AA0 0000AA19
	ds_write_b64 v25, v[172:173] offset:3264                   // 000000007E44: D89A0CC0 0000AC19
	ds_write_b64 v25, v[174:175] offset:3808                   // 000000007E4C: D89A0EE0 0000AE19
	ds_write_b64 v25, v[176:177] offset:4352                   // 000000007E54: D89A1100 0000B019
	ds_write_b64 v25, v[178:179] offset:4896                   // 000000007E5C: D89A1320 0000B219
	ds_write_b64 v25, v[180:181] offset:5440                   // 000000007E64: D89A1540 0000B419
	ds_write_b64 v25, v[182:183] offset:5984                   // 000000007E6C: D89A1760 0000B619
	s_waitcnt lgkmcnt(0)                                       // 000000007E74: BF8CC07F
	s_barrier                                                  // 000000007E78: BF8A0000
	ds_read_b64 v[160:161], v24                                // 000000007E7C: D8EC0000 A0000018
	ds_read_b64 v[162:163], v24 offset:128                     // 000000007E84: D8EC0080 A2000018
	ds_read_b64 v[164:165], v24 offset:64                      // 000000007E8C: D8EC0040 A4000018
	ds_read_b64 v[166:167], v24 offset:192                     // 000000007E94: D8EC00C0 A6000018
	ds_read_b64 v[168:169], v24 offset:2176                    // 000000007E9C: D8EC0880 A8000018
	ds_read_b64 v[170:171], v24 offset:2304                    // 000000007EA4: D8EC0900 AA000018
	ds_read_b64 v[172:173], v24 offset:2240                    // 000000007EAC: D8EC08C0 AC000018
	ds_read_b64 v[174:175], v24 offset:2368                    // 000000007EB4: D8EC0940 AE000018
	ds_read_b64 v[176:177], v24 offset:4352                    // 000000007EBC: D8EC1100 B0000018
	ds_read_b64 v[178:179], v24 offset:4480                    // 000000007EC4: D8EC1180 B2000018
	ds_read_b64 v[180:181], v24 offset:4416                    // 000000007ECC: D8EC1140 B4000018
	ds_read_b64 v[182:183], v24 offset:4544                    // 000000007ED4: D8EC11C0 B6000018
	s_waitcnt lgkmcnt(0)                                       // 000000007EDC: BF8CC07F
	buffer_store_dwordx4 v[160:163], v5, s[40:43], 0 idxen     // 000000007EE0: E07C2000 800AA005
	v_add_u32_e32 v5, 32, v5                                   // 000000007EE8: 680A0AA0
	buffer_store_dwordx4 v[164:167], v6, s[40:43], 0 idxen     // 000000007EEC: E07C2000 800AA406
	v_add_u32_e32 v6, 32, v6                                   // 000000007EF4: 680C0CA0
	buffer_store_dwordx4 v[168:171], v5, s[40:43], 0 idxen     // 000000007EF8: E07C2000 800AA805
	v_add_u32_e32 v5, 32, v5                                   // 000000007F00: 680A0AA0
	buffer_store_dwordx4 v[172:175], v6, s[40:43], 0 idxen     // 000000007F04: E07C2000 800AAC06
	v_add_u32_e32 v6, 32, v6                                   // 000000007F0C: 680C0CA0
	s_mov_b64 exec, s[90:91]                                   // 000000007F10: BEFE015A
	buffer_store_dwordx4 v[176:179], v5, s[40:43], 0 idxen     // 000000007F14: E07C2000 800AB005
	s_mov_b32 exec_lo, -1                                      // 000000007F1C: BEFE00C1
	s_mov_b32 exec_hi, -1                                      // 000000007F20: BEFF00C1
	v_add_u32_e32 v5, 32, v5                                   // 000000007F24: 680A0AA0
	s_mov_b64 exec, s[90:91]                                   // 000000007F28: BEFE015A
	buffer_store_dwordx4 v[180:183], v6, s[40:43], 0 idxen     // 000000007F2C: E07C2000 800AB406
	s_mov_b32 exec_lo, -1                                      // 000000007F34: BEFE00C1
	s_mov_b32 exec_hi, -1                                      // 000000007F38: BEFF00C1
	v_add_u32_e32 v6, 32, v6                                   // 000000007F3C: 680C0CA0
	s_waitcnt vmcnt(0) expcnt(0) lgkmcnt(0)                    // 000000007F40: BF8C0000
	s_sub_i32 s60, s77, 1                                      // 000000007F44: 81BC814D
	s_sub_i32 s2, s60, s2                                      // 000000007F48: 8182023C
	s_addk_i32 s75, 0x1                                        // 000000007F4C: B74B0001
	s_cmp_lt_i32 s75, s76                                      // 000000007F50: BF044C4B
	s_cbranch_scc1 label_0162                                  // 000000007F54: BF85F10C
	s_endpgm                                                   // 000000007F58: BF810000
